;; amdgpu-corpus repo=ROCm/rocFFT kind=compiled arch=gfx950 opt=O3
	.text
	.amdgcn_target "amdgcn-amd-amdhsa--gfx950"
	.amdhsa_code_object_version 6
	.protected	bluestein_single_fwd_len1870_dim1_sp_op_CI_CI ; -- Begin function bluestein_single_fwd_len1870_dim1_sp_op_CI_CI
	.globl	bluestein_single_fwd_len1870_dim1_sp_op_CI_CI
	.p2align	8
	.type	bluestein_single_fwd_len1870_dim1_sp_op_CI_CI,@function
bluestein_single_fwd_len1870_dim1_sp_op_CI_CI: ; @bluestein_single_fwd_len1870_dim1_sp_op_CI_CI
; %bb.0:
	s_load_dwordx4 s[4:7], s[0:1], 0x28
	v_mul_u32_u24_e32 v1, 0x15f, v0
	v_add_u32_sdwa v2, s2, v1 dst_sel:DWORD dst_unused:UNUSED_PAD src0_sel:DWORD src1_sel:WORD_1
	v_mov_b32_e32 v3, 0
	v_accvgpr_write_b32 a0, v2
	s_waitcnt lgkmcnt(0)
	v_cmp_gt_u64_e32 vcc, s[4:5], v[2:3]
	s_and_saveexec_b64 s[2:3], vcc
	s_cbranch_execz .LBB0_23
; %bb.1:
	s_load_dwordx2 s[12:13], s[0:1], 0x0
	s_load_dwordx2 s[14:15], s[0:1], 0x38
	s_movk_i32 s2, 0xbb
	v_mul_lo_u16_sdwa v1, v1, s2 dst_sel:DWORD dst_unused:UNUSED_PAD src0_sel:WORD_1 src1_sel:DWORD
	v_sub_u16_e32 v74, v0, v1
	s_movk_i32 s2, 0x6e
	v_cmp_gt_u16_e64 s[4:5], s2, v74
	v_lshlrev_b32_e32 v70, 3, v74
	s_and_saveexec_b64 s[2:3], s[4:5]
	s_cbranch_execz .LBB0_3
; %bb.2:
	s_load_dwordx2 s[8:9], s[0:1], 0x18
	v_accvgpr_read_b32 v10, a0
	v_mov_b32_e32 v0, s6
	v_mov_b32_e32 v1, s7
	;; [unrolled: 1-line block ×3, first 2 shown]
	s_waitcnt lgkmcnt(0)
	s_load_dwordx4 s[8:11], s[8:9], 0x0
	v_mov_b32_e32 v71, 0
	v_lshl_add_u64 v[18:19], s[12:13], 0, v[70:71]
	s_waitcnt lgkmcnt(0)
	v_mad_u64_u32 v[2:3], s[6:7], s10, v10, 0
	v_mad_u64_u32 v[4:5], s[6:7], s8, v74, 0
	v_mov_b32_e32 v6, v3
	v_mov_b32_e32 v8, v5
	v_mad_u64_u32 v[6:7], s[6:7], s11, v10, v[6:7]
	v_mov_b32_e32 v3, v6
	v_mad_u64_u32 v[6:7], s[6:7], s9, v74, v[8:9]
	v_mov_b32_e32 v5, v6
	v_lshl_add_u64 v[0:1], v[2:3], 3, v[0:1]
	v_lshl_add_u64 v[2:3], v[4:5], 3, v[0:1]
	v_mad_u64_u32 v[6:7], s[6:7], s8, v68, v[2:3]
	s_mul_i32 s6, s9, 0x370
	s_nop 0
	v_add_u32_e32 v7, s6, v7
	v_mad_u64_u32 v[8:9], s[10:11], s8, v68, v[6:7]
	v_add_u32_e32 v9, s6, v9
	s_movk_i32 s7, 0x1000
	v_mad_u64_u32 v[16:17], s[10:11], s8, v68, v[8:9]
	v_add_co_u32_e32 v20, vcc, s7, v18
	v_add_u32_e32 v17, s6, v17
	s_nop 0
	v_addc_co_u32_e32 v21, vcc, 0, v19, vcc
	global_load_dwordx2 v[0:1], v[2:3], off
	global_load_dwordx2 v[4:5], v[6:7], off
	s_nop 0
	global_load_dwordx2 v[2:3], v[8:9], off
	global_load_dwordx2 v[12:13], v70, s[12:13]
	global_load_dwordx2 v[10:11], v70, s[12:13] offset:880
	global_load_dwordx2 v[6:7], v70, s[12:13] offset:1760
	s_nop 0
	global_load_dwordx2 v[8:9], v70, s[12:13] offset:2640
	global_load_dwordx2 v[14:15], v70, s[12:13] offset:3520
	global_load_dwordx2 v[24:25], v[20:21], off offset:304
	global_load_dwordx2 v[26:27], v[20:21], off offset:1184
	;; [unrolled: 1-line block ×4, first 2 shown]
	global_load_dwordx2 v[32:33], v[16:17], off
	v_mad_u64_u32 v[16:17], s[10:11], s8, v68, v[16:17]
	v_add_u32_e32 v17, s6, v17
	global_load_dwordx2 v[34:35], v[16:17], off
	v_mad_u64_u32 v[16:17], s[10:11], s8, v68, v[16:17]
	v_add_u32_e32 v17, s6, v17
	global_load_dwordx2 v[36:37], v[16:17], off
	v_mad_u64_u32 v[16:17], s[10:11], s8, v68, v[16:17]
	v_add_u32_e32 v17, s6, v17
	global_load_dwordx2 v[38:39], v[16:17], off
	v_mad_u64_u32 v[16:17], s[10:11], s8, v68, v[16:17]
	v_add_u32_e32 v17, s6, v17
	global_load_dwordx2 v[40:41], v[16:17], off
	v_mad_u64_u32 v[16:17], s[10:11], s8, v68, v[16:17]
	v_add_u32_e32 v17, s6, v17
	global_load_dwordx2 v[42:43], v[16:17], off
	v_mad_u64_u32 v[16:17], s[10:11], s8, v68, v[16:17]
	v_add_u32_e32 v17, s6, v17
	global_load_dwordx2 v[44:45], v[16:17], off
	v_mad_u64_u32 v[16:17], s[10:11], s8, v68, v[16:17]
	v_add_u32_e32 v17, s6, v17
	global_load_dwordx2 v[46:47], v[16:17], off
	global_load_dwordx2 v[48:49], v[20:21], off offset:3824
	v_mad_u64_u32 v[16:17], s[10:11], s8, v68, v[16:17]
	s_movk_i32 s9, 0x2000
	v_add_u32_e32 v17, s6, v17
	v_add_co_u32_e32 v22, vcc, s9, v18
	global_load_dwordx2 v[20:21], v[16:17], off
	v_mad_u64_u32 v[16:17], s[10:11], s8, v68, v[16:17]
	v_addc_co_u32_e32 v23, vcc, 0, v19, vcc
	v_add_u32_e32 v17, s6, v17
	global_load_dwordx2 v[50:51], v[22:23], off offset:608
	global_load_dwordx2 v[52:53], v[16:17], off
	global_load_dwordx2 v[54:55], v[22:23], off offset:1488
	global_load_dwordx2 v[56:57], v[22:23], off offset:2368
	v_mad_u64_u32 v[16:17], s[10:11], s8, v68, v[16:17]
	v_add_u32_e32 v17, s6, v17
	global_load_dwordx2 v[58:59], v[16:17], off
	global_load_dwordx2 v[60:61], v[22:23], off offset:3248
	v_mad_u64_u32 v[16:17], s[10:11], s8, v68, v[16:17]
	v_add_u32_e32 v17, s6, v17
	s_movk_i32 s7, 0x3000
	global_load_dwordx2 v[22:23], v[16:17], off
	v_add_co_u32_e32 v18, vcc, s7, v18
	v_mad_u64_u32 v[16:17], s[10:11], s8, v68, v[16:17]
	s_nop 0
	v_addc_co_u32_e32 v19, vcc, 0, v19, vcc
	v_add_u32_e32 v17, s6, v17
	global_load_dwordx2 v[62:63], v[18:19], off offset:32
	global_load_dwordx2 v[64:65], v[16:17], off
	global_load_dwordx2 v[66:67], v[18:19], off offset:912
	v_mad_u64_u32 v[16:17], s[8:9], s8, v68, v[16:17]
	v_add_u32_e32 v17, s6, v17
	global_load_dwordx2 v[68:69], v[16:17], off
	global_load_dwordx2 v[72:73], v[18:19], off offset:1792
	v_add_u32_e32 v18, 0x400, v70
	s_waitcnt vmcnt(30)
	v_mul_f32_e32 v16, v1, v13
	v_mul_f32_e32 v13, v0, v13
	v_fmac_f32_e32 v16, v0, v12
	v_fma_f32 v17, v1, v12, -v13
	s_waitcnt vmcnt(29)
	v_mul_f32_e32 v0, v5, v11
	v_mul_f32_e32 v1, v4, v11
	v_fmac_f32_e32 v0, v4, v10
	v_fma_f32 v1, v5, v10, -v1
	ds_write2_b64 v70, v[16:17], v[0:1] offset1:110
	s_waitcnt vmcnt(28)
	v_mul_f32_e32 v0, v3, v7
	v_mul_f32_e32 v1, v2, v7
	v_fmac_f32_e32 v0, v2, v6
	v_fma_f32 v1, v3, v6, -v1
	s_waitcnt vmcnt(21)
	v_mul_f32_e32 v2, v33, v9
	v_mul_f32_e32 v3, v32, v9
	v_fmac_f32_e32 v2, v32, v8
	v_fma_f32 v3, v33, v8, -v3
	ds_write2_b64 v18, v[0:1], v[2:3] offset0:92 offset1:202
	s_waitcnt vmcnt(20)
	v_mul_f32_e32 v0, v35, v15
	v_mul_f32_e32 v1, v34, v15
	s_waitcnt vmcnt(19)
	v_mul_f32_e32 v2, v37, v25
	v_mul_f32_e32 v3, v36, v25
	v_fmac_f32_e32 v0, v34, v14
	v_fma_f32 v1, v35, v14, -v1
	v_fmac_f32_e32 v2, v36, v24
	v_fma_f32 v3, v37, v24, -v3
	v_add_u32_e32 v4, 0xc00, v70
	ds_write2_b64 v4, v[0:1], v[2:3] offset0:56 offset1:166
	s_waitcnt vmcnt(18)
	v_mul_f32_e32 v0, v39, v27
	v_mul_f32_e32 v1, v38, v27
	s_waitcnt vmcnt(17)
	v_mul_f32_e32 v2, v41, v29
	v_mul_f32_e32 v3, v40, v29
	v_fmac_f32_e32 v0, v38, v26
	v_fma_f32 v1, v39, v26, -v1
	v_fmac_f32_e32 v2, v40, v28
	v_fma_f32 v3, v41, v28, -v3
	v_add_u32_e32 v4, 0x1400, v70
	ds_write2_b64 v4, v[0:1], v[2:3] offset0:20 offset1:130
	s_waitcnt vmcnt(16)
	v_mul_f32_e32 v0, v43, v31
	v_mul_f32_e32 v1, v42, v31
	s_waitcnt vmcnt(13)
	v_mul_f32_e32 v2, v45, v49
	v_mul_f32_e32 v3, v44, v49
	v_fmac_f32_e32 v0, v42, v30
	v_fma_f32 v1, v43, v30, -v1
	v_fmac_f32_e32 v2, v44, v48
	v_fma_f32 v3, v45, v48, -v3
	v_add_u32_e32 v4, 0x1800, v70
	ds_write2_b64 v4, v[0:1], v[2:3] offset0:112 offset1:222
	s_waitcnt vmcnt(11)
	v_mul_f32_e32 v0, v47, v51
	v_mul_f32_e32 v1, v46, v51
	s_waitcnt vmcnt(9)
	v_mul_f32_e32 v2, v21, v55
	v_mul_f32_e32 v3, v20, v55
	v_fmac_f32_e32 v0, v46, v50
	v_fma_f32 v1, v47, v50, -v1
	v_fmac_f32_e32 v2, v20, v54
	v_fma_f32 v3, v21, v54, -v3
	v_add_u32_e32 v4, 0x2000, v70
	ds_write2_b64 v4, v[0:1], v[2:3] offset0:76 offset1:186
	s_waitcnt vmcnt(8)
	v_mul_f32_e32 v0, v53, v57
	v_mul_f32_e32 v1, v52, v57
	s_waitcnt vmcnt(6)
	v_mul_f32_e32 v2, v59, v61
	v_mul_f32_e32 v3, v58, v61
	v_fmac_f32_e32 v0, v52, v56
	v_fma_f32 v1, v53, v56, -v1
	v_fmac_f32_e32 v2, v58, v60
	v_fma_f32 v3, v59, v60, -v3
	v_add_u32_e32 v4, 0x2800, v70
	ds_write2_b64 v4, v[0:1], v[2:3] offset0:40 offset1:150
	s_waitcnt vmcnt(4)
	v_mul_f32_e32 v0, v23, v63
	v_mul_f32_e32 v1, v22, v63
	s_waitcnt vmcnt(2)
	v_mul_f32_e32 v2, v65, v67
	v_mul_f32_e32 v3, v64, v67
	v_fmac_f32_e32 v0, v22, v62
	v_fma_f32 v1, v23, v62, -v1
	v_fmac_f32_e32 v2, v64, v66
	v_fma_f32 v3, v65, v66, -v3
	v_add_u32_e32 v4, 0x3000, v70
	ds_write2_b64 v4, v[0:1], v[2:3] offset0:4 offset1:114
	s_waitcnt vmcnt(0)
	v_mul_f32_e32 v0, v69, v73
	v_mul_f32_e32 v1, v68, v73
	v_fmac_f32_e32 v0, v68, v72
	v_fma_f32 v1, v69, v72, -v1
	ds_write_b64 v70, v[0:1] offset:14080
.LBB0_3:
	s_or_b64 exec, exec, s[2:3]
	s_load_dwordx2 s[2:3], s[0:1], 0x20
	s_load_dwordx2 s[6:7], s[0:1], 0x8
	v_accvgpr_write_b32 a1, v74
	v_mov_b32_e32 v0, 0
	v_mov_b32_e32 v1, 0
	s_waitcnt lgkmcnt(0)
	s_barrier
	s_waitcnt lgkmcnt(0)
                                        ; implicit-def: $vgpr18
                                        ; implicit-def: $vgpr4
                                        ; implicit-def: $vgpr22
                                        ; implicit-def: $vgpr8
                                        ; implicit-def: $vgpr26
                                        ; implicit-def: $vgpr14
                                        ; implicit-def: $vgpr28
                                        ; implicit-def: $vgpr32
	s_and_saveexec_b64 s[0:1], s[4:5]
	s_cbranch_execz .LBB0_5
; %bb.4:
	v_add_u32_e32 v4, 0x400, v70
	ds_read2_b64 v[28:31], v4 offset0:92 offset1:202
	v_add_u32_e32 v4, 0xc00, v70
	ds_read2_b64 v[24:27], v4 offset0:56 offset1:166
	;; [unrolled: 2-line block ×4, first 2 shown]
	v_add_u32_e32 v4, 0x2000, v70
	v_add_u32_e32 v8, 0x2800, v70
	;; [unrolled: 1-line block ×3, first 2 shown]
	ds_read2_b64 v[0:3], v70 offset1:110
	ds_read2_b64 v[4:7], v4 offset0:76 offset1:186
	ds_read2_b64 v[8:11], v8 offset0:40 offset1:150
	;; [unrolled: 1-line block ×3, first 2 shown]
	ds_read_b64 v[32:33], v70 offset:14080
.LBB0_5:
	s_or_b64 exec, exec, s[0:1]
	s_waitcnt lgkmcnt(0)
	v_accvgpr_write_b32 a4, v32
	v_pk_add_f32 v[48:49], v[2:3], v[32:33] neg_lo:[0,1] neg_hi:[0,1]
	s_mov_b32 s46, 0xbf2c7751
	v_pk_add_f32 v[36:37], v[32:33], v[2:3]
	v_accvgpr_write_b32 a5, v33
	v_pk_add_f32 v[50:51], v[28:29], v[14:15] neg_lo:[0,1] neg_hi:[0,1]
	s_mov_b32 s8, 0x3f3d2fb0
	v_pk_mul_f32 v[32:33], v[48:49], s[46:47] op_sel_hi:[1,0]
	s_mov_b32 s40, 0xbf7ee86f
	v_pk_add_f32 v[38:39], v[14:15], v[28:29]
	v_pk_fma_f32 v[40:41], v[36:37], s[8:9], v[32:33] op_sel:[0,0,1] op_sel_hi:[1,0,0]
	v_pk_fma_f32 v[60:61], v[36:37], s[8:9], v[32:33] op_sel:[0,0,1] op_sel_hi:[1,0,0] neg_lo:[0,0,1] neg_hi:[0,0,1]
	s_mov_b32 s0, 0x3dbcf732
	v_pk_mul_f32 v[32:33], v[50:51], s[40:41] op_sel_hi:[1,0]
	s_mov_b32 s48, 0xbf65296c
	v_pk_fma_f32 v[42:43], v[38:39], s[0:1], v[32:33] op_sel:[0,0,1] op_sel_hi:[1,0,0]
	v_pk_fma_f32 v[62:63], v[38:39], s[0:1], v[32:33] op_sel:[0,0,1] op_sel_hi:[1,0,0] neg_lo:[0,0,1] neg_hi:[0,0,1]
	s_mov_b32 s18, 0xbf4c4adb
	v_mov_b32_e32 v71, v41
	v_mov_b32_e32 v41, v61
	s_mov_b32 s10, 0x3ee437d1
	v_pk_mul_f32 v[32:33], v[48:49], s[48:49] op_sel_hi:[1,0]
	s_mov_b32 s16, 0xbf1a4643
	v_pk_mul_f32 v[34:35], v[50:51], s[18:19] op_sel_hi:[1,0]
	v_pk_add_f32 v[40:41], v[40:41], v[0:1]
	v_accvgpr_write_b32 a7, v43
	v_mov_b32_e32 v43, v63
	v_pk_add_f32 v[40:41], v[42:43], v[40:41]
	v_pk_fma_f32 v[42:43], v[38:39], s[16:17], v[34:35] op_sel:[0,0,1] op_sel_hi:[1,0,0]
	v_pk_fma_f32 v[78:79], v[38:39], s[16:17], v[34:35] op_sel:[0,0,1] op_sel_hi:[1,0,0] neg_lo:[0,0,1] neg_hi:[0,0,1]
	v_pk_fma_f32 v[34:35], v[36:37], s[10:11], v[32:33] op_sel:[0,0,1] op_sel_hi:[1,0,0]
	v_pk_fma_f32 v[80:81], v[36:37], s[10:11], v[32:33] op_sel:[0,0,1] op_sel_hi:[1,0,0] neg_lo:[0,0,1] neg_hi:[0,0,1]
	v_mov_b32_e32 v32, v34
	v_mov_b32_e32 v33, v81
	;; [unrolled: 1-line block ×3, first 2 shown]
	v_pk_add_f32 v[32:33], v[32:33], v[0:1]
	v_mov_b32_e32 v34, v42
	v_mov_b32_e32 v35, v79
	v_pk_add_f32 v[56:57], v[30:31], v[12:13] neg_lo:[0,1] neg_hi:[0,1]
	v_pk_add_f32 v[32:33], v[34:35], v[32:33]
	v_pk_add_f32 v[54:55], v[12:13], v[30:31]
	v_pk_mul_f32 v[34:35], v[56:57], s[18:19] op_sel_hi:[1,0]
	v_mov_b32_e32 v61, v43
	v_pk_fma_f32 v[42:43], v[54:55], s[16:17], v[34:35] op_sel:[0,0,1] op_sel_hi:[1,0,0]
	v_pk_fma_f32 v[90:91], v[54:55], s[16:17], v[34:35] op_sel:[0,0,1] op_sel_hi:[1,0,0] neg_lo:[0,0,1] neg_hi:[0,0,1]
	v_mov_b32_e32 v34, v42
	v_mov_b32_e32 v35, v91
	s_mov_b32 s20, 0x3e3c28d5
	v_pk_add_f32 v[34:35], v[34:35], v[40:41]
	s_mov_b32 s22, 0xbf7ba420
	v_pk_mul_f32 v[40:41], v[56:57], s[20:21] op_sel_hi:[1,0]
	v_accvgpr_write_b32 a9, v43
	v_pk_fma_f32 v[42:43], v[54:55], s[22:23], v[40:41] op_sel:[0,0,1] op_sel_hi:[1,0,0]
	v_pk_fma_f32 v[86:87], v[54:55], s[22:23], v[40:41] op_sel:[0,0,1] op_sel_hi:[1,0,0] neg_lo:[0,0,1] neg_hi:[0,0,1]
	v_mov_b32_e32 v40, v42
	v_mov_b32_e32 v41, v87
	s_mov_b32 s24, 0xbe3c28d5
	v_pk_add_f32 v[114:115], v[24:25], v[10:11] neg_lo:[0,1] neg_hi:[0,1]
	v_pk_add_f32 v[32:33], v[40:41], v[32:33]
	v_pk_add_f32 v[58:59], v[10:11], v[24:25]
	v_pk_mul_f32 v[40:41], v[114:115], s[24:25] op_sel:[1,0] op_sel_hi:[0,0]
	v_mov_b32_e32 v91, v43
	v_pk_fma_f32 v[42:43], v[58:59], s[22:23], v[40:41] op_sel_hi:[1,0,1]
	v_pk_fma_f32 v[102:103], v[58:59], s[22:23], v[40:41] op_sel_hi:[1,0,1] neg_lo:[0,0,1] neg_hi:[0,0,1]
	v_mov_b32_e32 v40, v42
	v_mov_b32_e32 v41, v103
	s_mov_b32 s52, 0x3f763a35
	v_pk_add_f32 v[34:35], v[40:41], v[34:35]
	s_mov_b32 s20, 0xbe8c1d8e
	v_pk_mul_f32 v[40:41], v[114:115], s[52:53] op_sel:[1,0] op_sel_hi:[0,0]
	v_accvgpr_write_b32 a13, v43
	v_pk_fma_f32 v[42:43], v[58:59], s[20:21], v[40:41] op_sel_hi:[1,0,1]
	v_pk_fma_f32 v[98:99], v[58:59], s[20:21], v[40:41] op_sel_hi:[1,0,1] neg_lo:[0,0,1] neg_hi:[0,0,1]
	v_mov_b32_e32 v40, v42
	v_mov_b32_e32 v41, v99
	s_mov_b32 s44, 0x3f06c442
	v_pk_add_f32 v[124:125], v[26:27], v[8:9] neg_lo:[0,1] neg_hi:[0,1]
	v_pk_add_f32 v[32:33], v[40:41], v[32:33]
	s_mov_b32 s26, 0xbf59a7d5
	v_pk_add_f32 v[64:65], v[8:9], v[26:27]
	v_pk_mul_f32 v[40:41], v[124:125], s[44:45] op_sel:[1,0] op_sel_hi:[0,0]
	v_accvgpr_write_b32 a11, v43
	v_pk_fma_f32 v[42:43], v[64:65], s[26:27], v[40:41] op_sel_hi:[1,0,1]
	v_pk_fma_f32 v[112:113], v[64:65], s[26:27], v[40:41] op_sel_hi:[1,0,1] neg_lo:[0,0,1] neg_hi:[0,0,1]
	v_mov_b32_e32 v40, v42
	v_mov_b32_e32 v41, v113
	s_mov_b32 s28, 0x3f2c7751
	v_pk_add_f32 v[34:35], v[40:41], v[34:35]
	v_pk_mul_f32 v[40:41], v[124:125], s[28:29] op_sel:[1,0] op_sel_hi:[0,0]
	v_mov_b32_e32 v99, v43
	v_pk_fma_f32 v[42:43], v[64:65], s[8:9], v[40:41] op_sel_hi:[1,0,1]
	v_pk_fma_f32 v[108:109], v[64:65], s[8:9], v[40:41] op_sel_hi:[1,0,1] neg_lo:[0,0,1] neg_hi:[0,0,1]
	v_mov_b32_e32 v40, v42
	v_mov_b32_e32 v41, v109
	v_pk_add_f32 v[134:135], v[20:21], v[6:7] neg_lo:[0,1] neg_hi:[0,1]
	v_pk_add_f32 v[32:33], v[40:41], v[32:33]
	v_pk_add_f32 v[74:75], v[6:7], v[20:21]
	v_pk_mul_f32 v[40:41], v[134:135], s[52:53] op_sel:[1,0] op_sel_hi:[0,0]
	v_accvgpr_write_b32 a15, v43
	v_pk_fma_f32 v[42:43], v[74:75], s[20:21], v[40:41] op_sel_hi:[1,0,1]
	v_pk_fma_f32 v[122:123], v[74:75], s[20:21], v[40:41] op_sel_hi:[1,0,1] neg_lo:[0,0,1] neg_hi:[0,0,1]
	v_mov_b32_e32 v40, v42
	v_mov_b32_e32 v41, v123
	s_mov_b32 s50, 0xbeb8f4ab
	v_pk_add_f32 v[34:35], v[40:41], v[34:35]
	s_mov_b32 s34, 0x3f6eb680
	v_pk_mul_f32 v[40:41], v[134:135], s[50:51] op_sel:[1,0] op_sel_hi:[0,0]
	v_mov_b32_e32 v109, v43
	v_pk_fma_f32 v[42:43], v[74:75], s[34:35], v[40:41] op_sel_hi:[1,0,1]
	v_pk_fma_f32 v[118:119], v[74:75], s[34:35], v[40:41] op_sel_hi:[1,0,1] neg_lo:[0,0,1] neg_hi:[0,0,1]
	v_mov_b32_e32 v40, v42
	v_mov_b32_e32 v41, v119
	s_mov_b32 s30, 0x3f65296c
	v_pk_add_f32 v[172:173], v[22:23], v[4:5] neg_lo:[0,1] neg_hi:[0,1]
	v_pk_add_f32 v[32:33], v[40:41], v[32:33]
	v_pk_add_f32 v[82:83], v[4:5], v[22:23]
	v_pk_mul_f32 v[40:41], v[172:173], s[30:31] op_sel:[1,0] op_sel_hi:[0,0]
	v_accvgpr_write_b32 a17, v43
	v_pk_fma_f32 v[42:43], v[82:83], s[10:11], v[40:41] op_sel_hi:[1,0,1]
	v_pk_fma_f32 v[132:133], v[82:83], s[10:11], v[40:41] op_sel_hi:[1,0,1] neg_lo:[0,0,1] neg_hi:[0,0,1]
	v_mov_b32_e32 v40, v42
	v_mov_b32_e32 v41, v133
	v_pk_add_f32 v[34:35], v[40:41], v[34:35]
	v_pk_mul_f32 v[40:41], v[172:173], s[40:41] op_sel:[1,0] op_sel_hi:[0,0]
	v_mov_b32_e32 v119, v43
	v_pk_fma_f32 v[42:43], v[82:83], s[0:1], v[40:41] op_sel_hi:[1,0,1]
	v_pk_fma_f32 v[128:129], v[82:83], s[0:1], v[40:41] op_sel_hi:[1,0,1] neg_lo:[0,0,1] neg_hi:[0,0,1]
	v_mov_b32_e32 v40, v42
	v_mov_b32_e32 v41, v129
	s_mov_b32 s38, 0x3eb8f4ab
	v_pk_add_f32 v[188:189], v[16:17], v[18:19] neg_lo:[0,1] neg_hi:[0,1]
	v_pk_add_f32 v[32:33], v[40:41], v[32:33]
	v_pk_add_f32 v[84:85], v[18:19], v[16:17]
	v_pk_mul_f32 v[40:41], v[188:189], s[38:39] op_sel:[1,0] op_sel_hi:[0,0]
	v_accvgpr_write_b32 a19, v43
	v_pk_fma_f32 v[42:43], v[84:85], s[34:35], v[40:41] op_sel_hi:[1,0,1]
	v_pk_fma_f32 v[154:155], v[84:85], s[34:35], v[40:41] op_sel_hi:[1,0,1] neg_lo:[0,0,1] neg_hi:[0,0,1]
	s_mov_b32 s36, 0xbf06c442
	v_mov_b32_e32 v40, v42
	v_mov_b32_e32 v41, v155
	v_pk_add_f32 v[34:35], v[40:41], v[34:35]
	v_pk_mul_f32 v[40:41], v[188:189], s[36:37] op_sel:[1,0] op_sel_hi:[0,0]
	v_mov_b32_e32 v129, v43
	v_pk_fma_f32 v[42:43], v[84:85], s[26:27], v[40:41] op_sel_hi:[1,0,1]
	v_pk_fma_f32 v[142:143], v[84:85], s[26:27], v[40:41] op_sel_hi:[1,0,1] neg_lo:[0,0,1] neg_hi:[0,0,1]
	v_mov_b32_e32 v40, v42
	v_mov_b32_e32 v41, v143
	v_pk_add_f32 v[32:33], v[40:41], v[32:33]
	v_pk_mul_f32 v[40:41], v[48:49], s[40:41] op_sel_hi:[1,0]
	v_accvgpr_write_b32 a21, v43
	v_pk_fma_f32 v[42:43], v[36:37], s[0:1], v[40:41] op_sel:[0,0,1] op_sel_hi:[1,0,0]
	v_pk_fma_f32 v[136:137], v[36:37], s[0:1], v[40:41] op_sel:[0,0,1] op_sel_hi:[1,0,0] neg_lo:[0,0,1] neg_hi:[0,0,1]
	v_mov_b32_e32 v79, v43
	v_mov_b32_e32 v40, v42
	v_pk_mul_f32 v[42:43], v[50:51], s[24:25] op_sel_hi:[1,0]
	v_mov_b32_e32 v41, v137
	v_pk_fma_f32 v[202:203], v[38:39], s[22:23], v[42:43] op_sel:[0,0,1] op_sel_hi:[1,0,0]
	v_pk_fma_f32 v[144:145], v[38:39], s[22:23], v[42:43] op_sel:[0,0,1] op_sel_hi:[1,0,0] neg_lo:[0,0,1] neg_hi:[0,0,1]
	v_mov_b32_e32 v42, v202
	v_mov_b32_e32 v43, v145
	v_pk_add_f32 v[40:41], v[40:41], v[0:1]
	s_mov_b32 s42, 0xbf763a35
	v_pk_add_f32 v[40:41], v[42:43], v[40:41]
	v_pk_mul_f32 v[42:43], v[56:57], s[52:53] op_sel_hi:[1,0]
	v_pk_mul_f32 v[44:45], v[50:51], s[44:45] op_sel_hi:[1,0]
	v_pk_fma_f32 v[206:207], v[54:55], s[20:21], v[42:43] op_sel:[0,0,1] op_sel_hi:[1,0,0]
	v_pk_fma_f32 v[148:149], v[54:55], s[20:21], v[42:43] op_sel:[0,0,1] op_sel_hi:[1,0,0] neg_lo:[0,0,1] neg_hi:[0,0,1]
	v_mov_b32_e32 v42, v206
	v_mov_b32_e32 v43, v149
	v_pk_add_f32 v[40:41], v[42:43], v[40:41]
	v_pk_mul_f32 v[42:43], v[48:49], s[42:43] op_sel_hi:[1,0]
	v_pk_fma_f32 v[214:215], v[38:39], s[26:27], v[44:45] op_sel:[0,0,1] op_sel_hi:[1,0,0]
	v_pk_fma_f32 v[210:211], v[36:37], s[20:21], v[42:43] op_sel:[0,0,1] op_sel_hi:[1,0,0]
	v_pk_fma_f32 v[138:139], v[36:37], s[20:21], v[42:43] op_sel:[0,0,1] op_sel_hi:[1,0,0] neg_lo:[0,0,1] neg_hi:[0,0,1]
	v_mov_b32_e32 v42, v210
	v_mov_b32_e32 v43, v139
	v_pk_fma_f32 v[146:147], v[38:39], s[26:27], v[44:45] op_sel:[0,0,1] op_sel_hi:[1,0,0] neg_lo:[0,0,1] neg_hi:[0,0,1]
	v_mov_b32_e32 v44, v214
	v_mov_b32_e32 v45, v147
	v_pk_add_f32 v[42:43], v[42:43], v[0:1]
	s_mov_b32 s44, 0x3f7ee86f
	v_pk_add_f32 v[42:43], v[44:45], v[42:43]
	v_pk_mul_f32 v[44:45], v[56:57], s[28:29] op_sel_hi:[1,0]
	s_mov_b32 s54, 0x3f4c4adb
	v_pk_fma_f32 v[218:219], v[54:55], s[8:9], v[44:45] op_sel:[0,0,1] op_sel_hi:[1,0,0]
	v_pk_fma_f32 v[150:151], v[54:55], s[8:9], v[44:45] op_sel:[0,0,1] op_sel_hi:[1,0,0] neg_lo:[0,0,1] neg_hi:[0,0,1]
	v_mov_b32_e32 v44, v218
	v_mov_b32_e32 v45, v151
	v_pk_add_f32 v[42:43], v[44:45], v[42:43]
	v_pk_mul_f32 v[44:45], v[114:115], s[38:39] op_sel:[1,0] op_sel_hi:[0,0]
	v_pk_fma_f32 v[216:217], v[58:59], s[34:35], v[44:45] op_sel_hi:[1,0,1]
	v_pk_fma_f32 v[160:161], v[58:59], s[34:35], v[44:45] op_sel_hi:[1,0,1] neg_lo:[0,0,1] neg_hi:[0,0,1]
	v_mov_b32_e32 v44, v216
	v_mov_b32_e32 v45, v161
	v_pk_add_f32 v[40:41], v[44:45], v[40:41]
	v_pk_mul_f32 v[44:45], v[114:115], s[48:49] op_sel:[1,0] op_sel_hi:[0,0]
	v_pk_fma_f32 v[224:225], v[58:59], s[10:11], v[44:45] op_sel_hi:[1,0,1]
	v_pk_fma_f32 v[156:157], v[58:59], s[10:11], v[44:45] op_sel_hi:[1,0,1] neg_lo:[0,0,1] neg_hi:[0,0,1]
	v_mov_b32_e32 v44, v224
	v_mov_b32_e32 v45, v157
	v_pk_add_f32 v[42:43], v[44:45], v[42:43]
	v_pk_mul_f32 v[44:45], v[124:125], s[48:49] op_sel:[1,0] op_sel_hi:[0,0]
	v_pk_fma_f32 v[46:47], v[64:65], s[10:11], v[44:45] op_sel_hi:[1,0,1]
	v_pk_fma_f32 v[168:169], v[64:65], s[10:11], v[44:45] op_sel_hi:[1,0,1] neg_lo:[0,0,1] neg_hi:[0,0,1]
	v_mov_b32_e32 v44, v46
	v_mov_b32_e32 v45, v169
	v_pk_add_f32 v[40:41], v[44:45], v[40:41]
	v_pk_mul_f32 v[44:45], v[124:125], s[24:25] op_sel:[1,0] op_sel_hi:[0,0]
	v_pk_fma_f32 v[234:235], v[64:65], s[22:23], v[44:45] op_sel_hi:[1,0,1]
	v_pk_fma_f32 v[158:159], v[64:65], s[22:23], v[44:45] op_sel_hi:[1,0,1] neg_lo:[0,0,1] neg_hi:[0,0,1]
	v_mov_b32_e32 v44, v234
	v_mov_b32_e32 v45, v159
	v_pk_add_f32 v[42:43], v[44:45], v[42:43]
	v_pk_mul_f32 v[44:45], v[134:135], s[36:37] op_sel:[1,0] op_sel_hi:[0,0]
	v_accvgpr_write_b32 a23, v47
	v_pk_fma_f32 v[46:47], v[74:75], s[26:27], v[44:45] op_sel_hi:[1,0,1]
	v_pk_fma_f32 v[174:175], v[74:75], s[26:27], v[44:45] op_sel_hi:[1,0,1] neg_lo:[0,0,1] neg_hi:[0,0,1]
	v_mov_b32_e32 v44, v46
	v_mov_b32_e32 v45, v175
	v_pk_add_f32 v[40:41], v[44:45], v[40:41]
	v_pk_mul_f32 v[44:45], v[134:135], s[44:45] op_sel:[1,0] op_sel_hi:[0,0]
	v_accvgpr_write_b32 a27, v47
	v_pk_fma_f32 v[46:47], v[74:75], s[0:1], v[44:45] op_sel_hi:[1,0,1]
	v_pk_fma_f32 v[166:167], v[74:75], s[0:1], v[44:45] op_sel_hi:[1,0,1] neg_lo:[0,0,1] neg_hi:[0,0,1]
	;; [unrolled: 7-line block ×3, first 2 shown]
	v_mov_b32_e32 v44, v46
	v_mov_b32_e32 v45, v187
	v_pk_add_f32 v[40:41], v[44:45], v[40:41]
	v_pk_mul_f32 v[44:45], v[172:173], s[50:51] op_sel:[1,0] op_sel_hi:[0,0]
	v_mov_b32_e32 v167, v47
	v_pk_fma_f32 v[46:47], v[82:83], s[34:35], v[44:45] op_sel_hi:[1,0,1]
	v_pk_fma_f32 v[178:179], v[82:83], s[34:35], v[44:45] op_sel_hi:[1,0,1] neg_lo:[0,0,1] neg_hi:[0,0,1]
	v_mov_b32_e32 v44, v46
	v_mov_b32_e32 v45, v179
	v_pk_add_f32 v[44:45], v[44:45], v[42:43]
	v_pk_mul_f32 v[42:43], v[188:189], s[28:29] op_sel:[1,0] op_sel_hi:[0,0]
	v_accvgpr_write_b32 a29, v47
	v_pk_fma_f32 v[46:47], v[84:85], s[8:9], v[42:43] op_sel_hi:[1,0,1]
	v_pk_fma_f32 v[192:193], v[84:85], s[8:9], v[42:43] op_sel_hi:[1,0,1] neg_lo:[0,0,1] neg_hi:[0,0,1]
	v_mov_b32_e32 v42, v46
	v_mov_b32_e32 v43, v193
	v_pk_add_f32 v[42:43], v[42:43], v[40:41]
	v_pk_mul_f32 v[40:41], v[188:189], s[18:19] op_sel:[1,0] op_sel_hi:[0,0]
	v_mov_b32_e32 v179, v47
	v_pk_fma_f32 v[46:47], v[84:85], s[16:17], v[40:41] op_sel_hi:[1,0,1]
	v_pk_fma_f32 v[182:183], v[84:85], s[16:17], v[40:41] op_sel_hi:[1,0,1] neg_lo:[0,0,1] neg_hi:[0,0,1]
	v_mov_b32_e32 v40, v46
	v_mov_b32_e32 v41, v183
	v_pk_add_f32 v[40:41], v[40:41], v[44:45]
	v_pk_mul_f32 v[44:45], v[48:49], s[50:51] op_sel_hi:[1,0]
	v_accvgpr_write_b32 a31, v47
	v_pk_fma_f32 v[100:101], v[36:37], s[34:35], v[44:45] op_sel:[0,0,1] op_sel_hi:[1,0,0]
	v_pk_fma_f32 v[242:243], v[36:37], s[34:35], v[44:45] op_sel:[0,0,1] op_sel_hi:[1,0,0] neg_lo:[0,0,1] neg_hi:[0,0,1]
	v_pk_mul_f32 v[46:47], v[50:51], s[46:47] op_sel_hi:[1,0]
	v_mov_b32_e32 v44, v100
	v_mov_b32_e32 v45, v243
	v_pk_fma_f32 v[248:249], v[38:39], s[8:9], v[46:47] op_sel:[0,0,1] op_sel_hi:[1,0,0]
	v_pk_fma_f32 v[250:251], v[38:39], s[8:9], v[46:47] op_sel:[0,0,1] op_sel_hi:[1,0,0] neg_lo:[0,0,1] neg_hi:[0,0,1]
	v_pk_add_f32 v[44:45], v[44:45], v[0:1]
	v_mov_b32_e32 v46, v248
	v_mov_b32_e32 v47, v251
	v_pk_add_f32 v[44:45], v[46:47], v[44:45]
	v_pk_mul_f32 v[46:47], v[56:57], s[48:49] op_sel_hi:[1,0]
	v_pk_mul_f32 v[72:73], v[50:51], s[52:53] op_sel_hi:[1,0]
	v_pk_fma_f32 v[68:69], v[54:55], s[10:11], v[46:47] op_sel:[0,0,1] op_sel_hi:[1,0,0]
	v_pk_fma_f32 v[66:67], v[54:55], s[10:11], v[46:47] op_sel:[0,0,1] op_sel_hi:[1,0,0] neg_lo:[0,0,1] neg_hi:[0,0,1]
	v_mov_b32_e32 v46, v68
	v_mov_b32_e32 v47, v67
	v_pk_add_f32 v[44:45], v[46:47], v[44:45]
	v_pk_mul_f32 v[46:47], v[114:115], s[40:41] op_sel:[1,0] op_sel_hi:[0,0]
	v_pk_fma_f32 v[96:97], v[58:59], s[0:1], v[46:47] op_sel_hi:[1,0,1]
	v_pk_fma_f32 v[94:95], v[58:59], s[0:1], v[46:47] op_sel_hi:[1,0,1] neg_lo:[0,0,1] neg_hi:[0,0,1]
	v_mov_b32_e32 v46, v96
	v_mov_b32_e32 v47, v95
	v_pk_add_f32 v[44:45], v[46:47], v[44:45]
	v_pk_mul_f32 v[46:47], v[48:49], s[18:19] op_sel_hi:[1,0]
	v_pk_fma_f32 v[164:165], v[38:39], s[20:21], v[72:73] op_sel:[0,0,1] op_sel_hi:[1,0,0]
	v_pk_fma_f32 v[140:141], v[36:37], s[16:17], v[46:47] op_sel:[0,0,1] op_sel_hi:[1,0,0]
	v_pk_fma_f32 v[194:195], v[36:37], s[16:17], v[46:47] op_sel:[0,0,1] op_sel_hi:[1,0,0] neg_lo:[0,0,1] neg_hi:[0,0,1]
	v_mov_b32_e32 v46, v140
	v_mov_b32_e32 v47, v195
	v_pk_fma_f32 v[196:197], v[38:39], s[20:21], v[72:73] op_sel:[0,0,1] op_sel_hi:[1,0,0] neg_lo:[0,0,1] neg_hi:[0,0,1]
	v_mov_b32_e32 v72, v164
	v_mov_b32_e32 v73, v197
	v_pk_add_f32 v[46:47], v[46:47], v[0:1]
	v_pk_mul_f32 v[88:89], v[56:57], s[40:41] op_sel_hi:[1,0]
	v_pk_add_f32 v[46:47], v[72:73], v[46:47]
	v_pk_mul_f32 v[72:73], v[56:57], s[50:51] op_sel_hi:[1,0]
	v_pk_fma_f32 v[236:237], v[54:55], s[0:1], v[88:89] op_sel:[0,0,1] op_sel_hi:[1,0,0] neg_lo:[0,0,1] neg_hi:[0,0,1]
	v_pk_fma_f32 v[180:181], v[54:55], s[34:35], v[72:73] op_sel:[0,0,1] op_sel_hi:[1,0,0]
	v_pk_fma_f32 v[198:199], v[54:55], s[34:35], v[72:73] op_sel:[0,0,1] op_sel_hi:[1,0,0] neg_lo:[0,0,1] neg_hi:[0,0,1]
	v_mov_b32_e32 v72, v180
	v_mov_b32_e32 v73, v199
	v_pk_add_f32 v[46:47], v[72:73], v[46:47]
	v_pk_mul_f32 v[72:73], v[114:115], s[36:37] op_sel:[1,0] op_sel_hi:[0,0]
	v_pk_fma_f32 v[184:185], v[58:59], s[26:27], v[72:73] op_sel_hi:[1,0,1]
	v_pk_fma_f32 v[204:205], v[58:59], s[26:27], v[72:73] op_sel_hi:[1,0,1] neg_lo:[0,0,1] neg_hi:[0,0,1]
	v_mov_b32_e32 v72, v184
	v_mov_b32_e32 v73, v205
	v_pk_add_f32 v[46:47], v[72:73], v[46:47]
	v_pk_mul_f32 v[72:73], v[124:125], s[42:43] op_sel:[1,0] op_sel_hi:[0,0]
	v_pk_fma_f32 v[76:77], v[64:65], s[20:21], v[72:73] op_sel_hi:[1,0,1]
	v_pk_fma_f32 v[110:111], v[64:65], s[20:21], v[72:73] op_sel_hi:[1,0,1] neg_lo:[0,0,1] neg_hi:[0,0,1]
	;; [unrolled: 6-line block ×8, first 2 shown]
	v_mov_b32_e32 v72, v176
	v_mov_b32_e32 v73, v171
	v_pk_add_f32 v[44:45], v[72:73], v[44:45]
	v_pk_mul_f32 v[72:73], v[50:51], s[30:31] op_sel_hi:[1,0]
	v_accvgpr_write_b32 a2, v44
	v_accvgpr_write_b32 a3, v45
	v_pk_mul_f32 v[44:45], v[48:49], s[36:37] op_sel_hi:[1,0]
	v_pk_fma_f32 v[230:231], v[38:39], s[10:11], v[72:73] op_sel:[0,0,1] op_sel_hi:[1,0,0]
	v_pk_fma_f32 v[226:227], v[36:37], s[26:27], v[44:45] op_sel:[0,0,1] op_sel_hi:[1,0,0]
	v_pk_fma_f32 v[228:229], v[36:37], s[26:27], v[44:45] op_sel:[0,0,1] op_sel_hi:[1,0,0] neg_lo:[0,0,1] neg_hi:[0,0,1]
	v_mov_b32_e32 v44, v226
	v_mov_b32_e32 v45, v229
	v_pk_fma_f32 v[232:233], v[38:39], s[10:11], v[72:73] op_sel:[0,0,1] op_sel_hi:[1,0,0] neg_lo:[0,0,1] neg_hi:[0,0,1]
	v_mov_b32_e32 v72, v230
	v_mov_b32_e32 v73, v233
	v_pk_add_f32 v[44:45], v[44:45], v[0:1]
	v_accvgpr_read_b32 v180, a1
	v_pk_add_f32 v[44:45], v[72:73], v[44:45]
	v_pk_fma_f32 v[72:73], v[54:55], s[0:1], v[88:89] op_sel:[0,0,1] op_sel_hi:[1,0,0]
	v_mov_b32_e32 v89, v237
	v_mov_b32_e32 v88, v72
	v_pk_add_f32 v[44:45], v[88:89], v[44:45]
	v_pk_mul_f32 v[88:89], v[114:115], s[54:55] op_sel:[1,0] op_sel_hi:[0,0]
	v_pk_fma_f32 v[238:239], v[58:59], s[16:17], v[88:89] op_sel_hi:[1,0,1]
	v_pk_fma_f32 v[240:241], v[58:59], s[16:17], v[88:89] op_sel_hi:[1,0,1] neg_lo:[0,0,1] neg_hi:[0,0,1]
	v_mov_b32_e32 v88, v238
	v_mov_b32_e32 v89, v241
	v_pk_add_f32 v[44:45], v[88:89], v[44:45]
	v_pk_mul_f32 v[88:89], v[124:125], s[50:51] op_sel:[1,0] op_sel_hi:[0,0]
	v_pk_fma_f32 v[244:245], v[64:65], s[34:35], v[88:89] op_sel_hi:[1,0,1]
	v_pk_fma_f32 v[246:247], v[64:65], s[34:35], v[88:89] op_sel_hi:[1,0,1] neg_lo:[0,0,1] neg_hi:[0,0,1]
	;; [unrolled: 6-line block ×6, first 2 shown]
	v_mov_b32_e32 v120, v52
	v_mov_b32_e32 v121, v117
	v_pk_add_f32 v[46:47], v[120:121], v[46:47]
	v_mul_lo_u16_e32 v176, 17, v180
	s_barrier
	s_and_saveexec_b64 s[40:41], s[4:5]
	s_cbranch_execz .LBB0_7
; %bb.6:
	v_pk_add_f32 v[2:3], v[2:3], v[0:1]
	v_mov_b32_e32 v243, v101
	v_pk_add_f32 v[2:3], v[28:29], v[2:3]
	v_mov_b32_e32 v251, v249
	;; [unrolled: 2-line block ×9, first 2 shown]
	v_pk_add_f32 v[2:3], v[4:5], v[2:3]
	v_accvgpr_read_b32 v4, a4
	v_pk_add_f32 v[2:3], v[6:7], v[2:3]
	v_accvgpr_read_b32 v5, a5
	v_pk_add_f32 v[2:3], v[8:9], v[2:3]
	v_mov_b32_e32 v81, v63
	v_pk_add_f32 v[2:3], v[10:11], v[2:3]
	v_mov_b32_e32 v79, v61
	v_pk_add_f32 v[2:3], v[12:13], v[2:3]
	v_mov_b32_e32 v61, v71
	v_pk_add_f32 v[2:3], v[14:15], v[2:3]
	v_lshlrev_b32_e32 v52, 3, v176
	v_pk_add_f32 v[2:3], v[4:5], v[2:3]
	v_pk_add_f32 v[4:5], v[242:243], v[0:1]
	v_accvgpr_read_b32 v63, a7
	v_pk_add_f32 v[4:5], v[250:251], v[4:5]
	v_mov_b32_e32 v87, v91
	v_pk_add_f32 v[4:5], v[66:67], v[4:5]
	v_accvgpr_read_b32 v91, a9
	v_pk_add_f32 v[4:5], v[94:95], v[4:5]
	v_accvgpr_read_b32 v103, a13
	v_pk_add_f32 v[4:5], v[110:111], v[4:5]
	v_mov_b32_e32 v113, v99
	v_pk_add_f32 v[4:5], v[126:127], v[4:5]
	v_accvgpr_read_b32 v99, a11
	v_pk_add_f32 v[4:5], v[152:153], v[4:5]
	v_mov_b32_e32 v123, v109
	v_pk_add_f32 v[4:5], v[170:171], v[4:5]
	ds_write2_b64 v52, v[2:3], v[4:5] offset1:1
	v_pk_add_f32 v[2:3], v[60:61], v[0:1]
	v_pk_add_f32 v[4:5], v[80:81], v[0:1]
	;; [unrolled: 1-line block ×8, first 2 shown]
	v_accvgpr_read_b32 v109, a15
	v_pk_add_f32 v[2:3], v[112:113], v[2:3]
	v_mov_b32_e32 v133, v119
	v_pk_add_f32 v[4:5], v[108:109], v[4:5]
	v_accvgpr_read_b32 v119, a17
	v_pk_add_f32 v[2:3], v[122:123], v[2:3]
	v_mov_b32_e32 v155, v129
	v_pk_add_f32 v[4:5], v[118:119], v[4:5]
	v_accvgpr_read_b32 v129, a19
	v_pk_add_f32 v[2:3], v[132:133], v[2:3]
	v_pk_add_f32 v[4:5], v[128:129], v[4:5]
	v_accvgpr_read_b32 v143, a21
	v_mov_b32_e32 v139, v211
	v_pk_add_f32 v[2:3], v[154:155], v[2:3]
	v_pk_add_f32 v[4:5], v[142:143], v[4:5]
	v_mov_b32_e32 v147, v215
	v_mov_b32_e32 v145, v203
	ds_write2_b64 v52, v[2:3], v[4:5] offset0:2 offset1:3
	v_pk_add_f32 v[2:3], v[136:137], v[0:1]
	v_pk_add_f32 v[4:5], v[138:139], v[0:1]
	v_mov_b32_e32 v151, v219
	v_mov_b32_e32 v149, v207
	v_pk_add_f32 v[2:3], v[144:145], v[2:3]
	v_pk_add_f32 v[4:5], v[146:147], v[4:5]
	v_mov_b32_e32 v157, v225
	v_mov_b32_e32 v161, v217
	v_pk_add_f32 v[2:3], v[148:149], v[2:3]
	v_pk_add_f32 v[4:5], v[150:151], v[4:5]
	v_mov_b32_e32 v159, v235
	v_pk_add_f32 v[2:3], v[160:161], v[2:3]
	v_accvgpr_read_b32 v169, a23
	v_pk_add_f32 v[4:5], v[156:157], v[4:5]
	v_pk_add_f32 v[2:3], v[168:169], v[2:3]
	v_accvgpr_read_b32 v175, a27
	v_mov_b32_e32 v187, v167
	v_pk_add_f32 v[4:5], v[158:159], v[4:5]
	v_accvgpr_read_b32 v167, a25
	v_pk_add_f32 v[2:3], v[174:175], v[2:3]
	v_mov_b32_e32 v193, v179
	v_pk_add_f32 v[4:5], v[166:167], v[4:5]
	v_accvgpr_read_b32 v179, a29
	v_pk_add_f32 v[2:3], v[186:187], v[2:3]
	v_pk_add_f32 v[4:5], v[178:179], v[4:5]
	v_accvgpr_read_b32 v183, a31
	v_mov_b32_e32 v195, v141
	v_pk_add_f32 v[2:3], v[192:193], v[2:3]
	v_pk_add_f32 v[4:5], v[182:183], v[4:5]
	v_mov_b32_e32 v229, v227
	v_mov_b32_e32 v197, v165
	ds_write2_b64 v52, v[2:3], v[4:5] offset0:4 offset1:5
	v_pk_add_f32 v[2:3], v[194:195], v[0:1]
	v_pk_add_f32 v[4:5], v[228:229], v[0:1]
	v_mov_b32_e32 v233, v231
	v_mov_b32_e32 v199, v181
	v_pk_add_f32 v[2:3], v[196:197], v[2:3]
	v_pk_add_f32 v[4:5], v[232:233], v[4:5]
	v_mov_b32_e32 v237, v73
	v_mov_b32_e32 v205, v185
	;; [unrolled: 4-line block ×4, first 2 shown]
	v_pk_add_f32 v[2:3], v[208:209], v[2:3]
	v_pk_add_f32 v[4:5], v[246:247], v[4:5]
	v_mov_b32_e32 v255, v253
	v_pk_add_f32 v[2:3], v[212:213], v[2:3]
	v_mov_b32_e32 v223, v221
	;; [unrolled: 2-line block ×5, first 2 shown]
	v_pk_add_f32 v[2:3], v[116:117], v[2:3]
	v_pk_add_f32 v[4:5], v[104:105], v[4:5]
	ds_write2_b64 v52, v[2:3], v[4:5] offset0:6 offset1:7
	v_pk_mul_f32 v[2:3], v[48:49], s[24:25] op_sel_hi:[1,0]
	v_pk_mul_f32 v[8:9], v[50:51], s[38:39] op_sel_hi:[1,0]
	v_pk_fma_f32 v[4:5], v[36:37], s[22:23], v[2:3] op_sel:[0,0,1] op_sel_hi:[1,0,0] neg_lo:[0,0,1] neg_hi:[0,0,1]
	v_pk_fma_f32 v[2:3], v[36:37], s[22:23], v[2:3] op_sel:[0,0,1] op_sel_hi:[1,0,0]
	v_mov_b32_e32 v6, v4
	v_mov_b32_e32 v7, v3
	v_pk_fma_f32 v[10:11], v[38:39], s[34:35], v[8:9] op_sel:[0,0,1] op_sel_hi:[1,0,0] neg_lo:[0,0,1] neg_hi:[0,0,1]
	v_pk_fma_f32 v[8:9], v[38:39], s[34:35], v[8:9] op_sel:[0,0,1] op_sel_hi:[1,0,0]
	v_pk_add_f32 v[6:7], v[6:7], v[0:1]
	v_mov_b32_e32 v12, v10
	v_mov_b32_e32 v13, v9
	v_pk_add_f32 v[6:7], v[12:13], v[6:7]
	v_pk_mul_f32 v[12:13], v[56:57], s[36:37] op_sel_hi:[1,0]
	v_mov_b32_e32 v16, v115
	v_mov_b32_e32 v17, v114
	v_pk_fma_f32 v[14:15], v[54:55], s[26:27], v[12:13] op_sel:[0,0,1] op_sel_hi:[1,0,0] neg_lo:[0,0,1] neg_hi:[0,0,1]
	v_pk_fma_f32 v[12:13], v[54:55], s[26:27], v[12:13] op_sel:[0,0,1] op_sel_hi:[1,0,0]
	v_mov_b32_e32 v26, v14
	v_mov_b32_e32 v27, v13
	v_pk_mul_f32 v[16:17], v[16:17], s[28:29] op_sel_hi:[1,0]
	v_mov_b32_e32 v18, v125
	v_mov_b32_e32 v19, v124
	v_pk_add_f32 v[6:7], v[26:27], v[6:7]
	v_pk_fma_f32 v[26:27], v[58:59], s[8:9], v[16:17] op_sel_hi:[1,0,1] neg_lo:[0,0,1] neg_hi:[0,0,1]
	v_pk_fma_f32 v[16:17], v[58:59], s[8:9], v[16:17] op_sel_hi:[1,0,1]
	v_mov_b32_e32 v28, v26
	v_mov_b32_e32 v29, v17
	v_pk_mul_f32 v[18:19], v[18:19], s[18:19] op_sel_hi:[1,0]
	v_mov_b32_e32 v20, v135
	v_mov_b32_e32 v21, v134
	v_pk_add_f32 v[6:7], v[28:29], v[6:7]
	v_pk_fma_f32 v[28:29], v[64:65], s[16:17], v[18:19] op_sel_hi:[1,0,1] neg_lo:[0,0,1] neg_hi:[0,0,1]
	v_pk_fma_f32 v[18:19], v[64:65], s[16:17], v[18:19] op_sel_hi:[1,0,1]
	v_mov_b32_e32 v3, v5
	v_mov_b32_e32 v30, v28
	;; [unrolled: 1-line block ×3, first 2 shown]
	v_pk_mul_f32 v[20:21], v[20:21], s[30:31] op_sel_hi:[1,0]
	v_pk_add_f32 v[0:1], v[2:3], v[0:1]
	v_mov_b32_e32 v9, v11
	v_mov_b32_e32 v22, v173
	;; [unrolled: 1-line block ×3, first 2 shown]
	v_pk_add_f32 v[6:7], v[30:31], v[6:7]
	v_pk_fma_f32 v[30:31], v[74:75], s[10:11], v[20:21] op_sel_hi:[1,0,1] neg_lo:[0,0,1] neg_hi:[0,0,1]
	v_pk_fma_f32 v[20:21], v[74:75], s[10:11], v[20:21] op_sel_hi:[1,0,1]
	v_pk_add_f32 v[0:1], v[8:9], v[0:1]
	v_mov_b32_e32 v13, v15
	v_mov_b32_e32 v36, v30
	;; [unrolled: 1-line block ×3, first 2 shown]
	v_pk_mul_f32 v[22:23], v[22:23], s[42:43] op_sel_hi:[1,0]
	v_pk_add_f32 v[0:1], v[12:13], v[0:1]
	v_mov_b32_e32 v17, v27
	v_mov_b32_e32 v24, v189
	;; [unrolled: 1-line block ×3, first 2 shown]
	v_pk_add_f32 v[6:7], v[36:37], v[6:7]
	v_pk_fma_f32 v[36:37], v[82:83], s[20:21], v[22:23] op_sel_hi:[1,0,1] neg_lo:[0,0,1] neg_hi:[0,0,1]
	v_pk_fma_f32 v[22:23], v[82:83], s[20:21], v[22:23] op_sel_hi:[1,0,1]
	v_pk_add_f32 v[0:1], v[16:17], v[0:1]
	v_mov_b32_e32 v19, v29
	v_mov_b32_e32 v38, v36
	;; [unrolled: 1-line block ×3, first 2 shown]
	v_pk_mul_f32 v[24:25], v[24:25], s[44:45] op_sel_hi:[1,0]
	v_pk_add_f32 v[0:1], v[18:19], v[0:1]
	v_mov_b32_e32 v21, v31
	v_pk_add_f32 v[6:7], v[38:39], v[6:7]
	v_pk_fma_f32 v[38:39], v[84:85], s[0:1], v[24:25] op_sel_hi:[1,0,1] neg_lo:[0,0,1] neg_hi:[0,0,1]
	v_pk_fma_f32 v[24:25], v[84:85], s[0:1], v[24:25] op_sel_hi:[1,0,1]
	v_pk_add_f32 v[0:1], v[20:21], v[0:1]
	v_mov_b32_e32 v23, v37
	v_mov_b32_e32 v48, v38
	;; [unrolled: 1-line block ×3, first 2 shown]
	v_pk_add_f32 v[0:1], v[22:23], v[0:1]
	v_mov_b32_e32 v25, v39
	v_pk_add_f32 v[6:7], v[48:49], v[6:7]
	v_pk_add_f32 v[0:1], v[24:25], v[0:1]
	ds_write2_b64 v52, v[6:7], v[0:1] offset0:8 offset1:9
	ds_write2_b64 v52, v[44:45], v[46:47] offset0:10 offset1:11
	;; [unrolled: 1-line block ×4, first 2 shown]
	ds_write_b64 v52, a[2:3] offset:128
.LBB0_7:
	s_or_b64 exec, exec, s[40:41]
	s_movk_i32 s0, 0xf1
	v_mul_lo_u16_sdwa v0, v180, s0 dst_sel:DWORD dst_unused:UNUSED_PAD src0_sel:BYTE_0 src1_sel:DWORD
	v_lshrrev_b16_e32 v71, 12, v0
	v_mul_lo_u16_e32 v0, 17, v71
	v_sub_u16_e32 v0, v180, v0
	v_and_b32_e32 v76, 0xff, v0
	s_movk_i32 s0, 0x48
	v_mov_b64_e32 v[0:1], s[6:7]
	v_mad_u64_u32 v[16:17], s[0:1], v76, s0, v[0:1]
	s_load_dwordx4 s[8:11], s[2:3], 0x0
	s_waitcnt lgkmcnt(0)
	s_barrier
	global_load_dwordx4 v[12:15], v[16:17], off
	global_load_dwordx4 v[8:11], v[16:17], off offset:16
	global_load_dwordx4 v[4:7], v[16:17], off offset:32
	;; [unrolled: 1-line block ×3, first 2 shown]
	global_load_dwordx2 v[74:75], v[16:17], off offset:64
	ds_read2_b64 v[16:19], v70 offset1:187
	v_add_u32_e32 v20, 0xa00, v70
	v_add_u32_e32 v24, 0x1600, v70
	;; [unrolled: 1-line block ×4, first 2 shown]
	ds_read2_b64 v[20:23], v20 offset0:54 offset1:241
	ds_read2_b64 v[24:27], v24 offset0:44 offset1:231
	ds_read2_b64 v[28:31], v28 offset0:34 offset1:221
	ds_read2_b64 v[36:39], v36 offset0:24 offset1:211
	s_mov_b32 s2, 0x3f737871
	s_mov_b32 s3, 0xbf737871
	;; [unrolled: 1-line block ×6, first 2 shown]
	s_waitcnt lgkmcnt(0)
	s_barrier
	s_waitcnt vmcnt(4)
	v_pk_mul_f32 v[48:49], v[18:19], v[12:13] op_sel_hi:[1,0]
	v_mov_b32_e32 v50, v13
	v_mov_b32_e32 v52, v15
	s_waitcnt vmcnt(3)
	v_pk_mul_f32 v[54:55], v[22:23], v[8:9] op_sel_hi:[1,0]
	v_mov_b32_e32 v56, v9
	v_mov_b32_e32 v58, v11
	s_waitcnt vmcnt(2)
	v_pk_mul_f32 v[60:61], v[26:27], v[4:5] op_sel_hi:[1,0]
	v_mov_b32_e32 v62, v5
	v_mov_b32_e32 v64, v7
	s_waitcnt vmcnt(1)
	v_pk_mul_f32 v[66:67], v[30:31], v[0:1] op_sel_hi:[1,0]
	v_mov_b32_e32 v68, v1
	v_mov_b32_e32 v72, v3
	v_pk_fma_f32 v[50:51], v[18:19], v[50:51], v[48:49] op_sel:[0,0,1] op_sel_hi:[1,1,0]
	v_pk_fma_f32 v[18:19], v[18:19], v[12:13], v[48:49] op_sel:[0,1,1] op_sel_hi:[1,1,0] neg_lo:[1,0,0] neg_hi:[1,0,0]
	v_pk_mul_f32 v[48:49], v[20:21], v[52:53] op_sel_hi:[1,0]
	v_pk_fma_f32 v[52:53], v[22:23], v[56:57], v[54:55] op_sel:[0,0,1] op_sel_hi:[1,1,0]
	v_pk_fma_f32 v[22:23], v[22:23], v[8:9], v[54:55] op_sel:[0,1,1] op_sel_hi:[1,1,0] neg_lo:[1,0,0] neg_hi:[1,0,0]
	v_pk_mul_f32 v[54:55], v[24:25], v[58:59] op_sel_hi:[1,0]
	;; [unrolled: 3-line block ×4, first 2 shown]
	v_mov_b32_e32 v53, v23
	v_pk_fma_f32 v[22:23], v[24:25], v[10:11], v[54:55] op_sel:[0,0,1] op_sel_hi:[1,1,0] neg_lo:[0,0,1] neg_hi:[0,0,1]
	v_pk_fma_f32 v[24:25], v[24:25], v[10:11], v[54:55] op_sel:[0,0,1] op_sel_hi:[1,0,0]
	v_mov_b32_e32 v57, v27
	v_pk_fma_f32 v[26:27], v[28:29], v[6:7], v[58:59] op_sel:[0,0,1] op_sel_hi:[1,1,0] neg_lo:[0,0,1] neg_hi:[0,0,1]
	v_pk_fma_f32 v[28:29], v[28:29], v[6:7], v[58:59] op_sel:[0,0,1] op_sel_hi:[1,0,0]
	;; [unrolled: 3-line block ×4, first 2 shown]
	v_mov_b32_e32 v23, v25
	v_mov_b32_e32 v27, v29
	s_waitcnt vmcnt(0)
	v_pk_mul_f32 v[78:79], v[38:39], v[74:75] op_sel_hi:[1,0]
	v_mov_b32_e32 v80, v75
	v_mov_b32_e32 v19, v21
	v_mov_b32_e32 v31, v37
	v_pk_add_f32 v[28:29], v[22:23], v[26:27]
	v_pk_fma_f32 v[66:67], v[38:39], v[80:81], v[78:79] op_sel:[0,0,1] op_sel_hi:[1,1,0]
	v_pk_fma_f32 v[38:39], v[38:39], v[74:75], v[78:79] op_sel:[0,1,1] op_sel_hi:[1,1,0] neg_lo:[1,0,0] neg_hi:[1,0,0]
	v_pk_add_f32 v[36:37], v[18:19], v[30:31] neg_lo:[0,1] neg_hi:[0,1]
	v_pk_add_f32 v[48:49], v[18:19], v[22:23] neg_lo:[0,1] neg_hi:[0,1]
	;; [unrolled: 1-line block ×3, first 2 shown]
	v_pk_add_f32 v[58:59], v[16:17], v[18:19]
	v_pk_fma_f32 v[28:29], v[28:29], 0.5, v[16:17] op_sel_hi:[1,0,1] neg_lo:[1,0,0] neg_hi:[1,0,0]
	v_mov_b32_e32 v67, v39
	v_pk_add_f32 v[20:21], v[56:57], v[64:65]
	v_pk_add_f32 v[38:39], v[22:23], v[26:27] neg_lo:[0,1] neg_hi:[0,1]
	v_pk_add_f32 v[48:49], v[48:49], v[54:55]
	v_pk_add_f32 v[54:55], v[58:59], v[22:23]
	v_pk_fma_f32 v[58:59], v[36:37], s[2:3], v[28:29] op_sel:[1,0,0] op_sel_hi:[0,0,1] neg_lo:[1,0,0] neg_hi:[1,0,0]
	v_pk_fma_f32 v[28:29], v[36:37], s[2:3], v[28:29] op_sel:[1,0,0] op_sel_hi:[0,0,1]
	v_pk_add_f32 v[24:25], v[52:53], v[66:67] neg_lo:[0,1] neg_hi:[0,1]
	v_pk_fma_f32 v[20:21], v[20:21], 0.5, v[50:51] op_sel_hi:[1,0,1] neg_lo:[1,0,0] neg_hi:[1,0,0]
	v_pk_fma_f32 v[28:29], v[38:39], s[0:1], v[28:29] op_sel:[1,0,0] op_sel_hi:[0,0,1]
	v_pk_fma_f32 v[58:59], v[38:39], s[0:1], v[58:59] op_sel:[1,0,0] op_sel_hi:[0,0,1] neg_lo:[1,0,0] neg_hi:[1,0,0]
	v_mov_b32_e32 v60, v58
	v_mov_b32_e32 v61, v29
	v_pk_add_f32 v[72:73], v[56:57], v[64:65] neg_lo:[0,1] neg_hi:[0,1]
	v_pk_fma_f32 v[78:79], v[24:25], s[2:3], v[20:21] op_sel:[1,0,0] op_sel_hi:[0,0,1]
	v_pk_fma_f32 v[20:21], v[24:25], s[2:3], v[20:21] op_sel:[1,0,0] op_sel_hi:[0,0,1] neg_lo:[1,0,0] neg_hi:[1,0,0]
	v_pk_fma_f32 v[68:69], v[48:49], s[16:17], v[60:61] op_sel_hi:[1,0,1]
	v_pk_add_f32 v[60:61], v[52:53], v[56:57] neg_lo:[0,1] neg_hi:[0,1]
	v_pk_add_f32 v[62:63], v[66:67], v[64:65] neg_lo:[0,1] neg_hi:[0,1]
	v_pk_fma_f32 v[78:79], v[72:73], s[0:1], v[78:79] op_sel:[1,0,0] op_sel_hi:[0,0,1]
	v_pk_fma_f32 v[20:21], v[72:73], s[0:1], v[20:21] op_sel:[1,0,0] op_sel_hi:[0,0,1] neg_lo:[1,0,0] neg_hi:[1,0,0]
	v_pk_add_f32 v[62:63], v[60:61], v[62:63]
	v_mov_b32_e32 v81, v21
	v_mov_b32_e32 v21, v79
	;; [unrolled: 1-line block ×3, first 2 shown]
	v_pk_fma_f32 v[20:21], v[62:63], s[16:17], v[20:21] op_sel_hi:[1,0,1]
	v_pk_fma_f32 v[28:29], v[48:49], s[16:17], v[28:29] op_sel_hi:[1,0,1]
	v_pk_mul_f32 v[48:49], v[20:21], s[0:1] op_sel_hi:[1,0]
	v_pk_add_f32 v[54:55], v[54:55], v[26:27]
	v_pk_fma_f32 v[58:59], v[20:21], s[18:19], v[48:49] op_sel:[0,0,1] op_sel_hi:[1,0,0]
	v_pk_fma_f32 v[20:21], v[20:21], s[18:19], v[48:49] op_sel:[0,0,1] op_sel_hi:[1,0,0] neg_lo:[0,0,1] neg_hi:[0,0,1]
	v_mov_b32_e32 v58, v59
	v_mov_b32_e32 v59, v20
	v_pk_add_f32 v[20:21], v[18:19], v[30:31]
	v_pk_add_f32 v[18:19], v[22:23], v[18:19] neg_lo:[0,1] neg_hi:[0,1]
	v_pk_fma_f32 v[16:17], v[20:21], 0.5, v[16:17] op_sel_hi:[1,0,1] neg_lo:[1,0,0] neg_hi:[1,0,0]
	v_pk_add_f32 v[20:21], v[26:27], v[30:31] neg_lo:[0,1] neg_hi:[0,1]
	v_pk_add_f32 v[26:27], v[52:53], v[66:67]
	v_pk_add_f32 v[18:19], v[18:19], v[20:21]
	v_pk_fma_f32 v[20:21], v[38:39], s[2:3], v[16:17] op_sel:[1,0,0] op_sel_hi:[0,0,1]
	v_pk_fma_f32 v[16:17], v[38:39], s[2:3], v[16:17] op_sel:[1,0,0] op_sel_hi:[0,0,1] neg_lo:[1,0,0] neg_hi:[1,0,0]
	v_pk_add_f32 v[54:55], v[54:55], v[30:31]
	v_pk_fma_f32 v[16:17], v[36:37], s[0:1], v[16:17] op_sel:[1,0,0] op_sel_hi:[0,0,1]
	v_pk_fma_f32 v[20:21], v[36:37], s[0:1], v[20:21] op_sel:[1,0,0] op_sel_hi:[0,0,1] neg_lo:[1,0,0] neg_hi:[1,0,0]
	v_pk_fma_f32 v[26:27], v[26:27], 0.5, v[50:51] op_sel_hi:[1,0,1] neg_lo:[1,0,0] neg_hi:[1,0,0]
	v_pk_add_f32 v[30:31], v[56:57], v[52:53] neg_lo:[0,1] neg_hi:[0,1]
	v_pk_add_f32 v[36:37], v[64:65], v[66:67] neg_lo:[0,1] neg_hi:[0,1]
	v_mov_b32_e32 v22, v20
	v_pk_add_f32 v[30:31], v[30:31], v[36:37]
	v_pk_fma_f32 v[36:37], v[72:73], s[2:3], v[26:27] op_sel:[1,0,0] op_sel_hi:[0,0,1] neg_lo:[1,0,0] neg_hi:[1,0,0]
	v_pk_fma_f32 v[26:27], v[72:73], s[2:3], v[26:27] op_sel:[1,0,0] op_sel_hi:[0,0,1]
	v_pk_fma_f32 v[36:37], v[24:25], s[0:1], v[36:37] op_sel:[1,0,0] op_sel_hi:[0,0,1]
	v_pk_fma_f32 v[24:25], v[24:25], s[0:1], v[26:27] op_sel:[1,0,0] op_sel_hi:[0,0,1] neg_lo:[1,0,0] neg_hi:[1,0,0]
	v_mov_b32_e32 v23, v17
	v_mov_b32_e32 v27, v25
	;; [unrolled: 1-line block ×4, first 2 shown]
	v_pk_fma_f32 v[22:23], v[18:19], s[16:17], v[22:23] op_sel_hi:[1,0,1]
	v_pk_fma_f32 v[16:17], v[18:19], s[16:17], v[16:17] op_sel_hi:[1,0,1]
	;; [unrolled: 1-line block ×3, first 2 shown]
	v_pk_add_f32 v[60:61], v[50:51], v[52:53]
	v_mov_b32_e32 v80, v78
	v_mov_b32_e32 v26, v36
	v_pk_mul_f32 v[20:21], v[18:19], s[2:3] op_sel_hi:[1,0]
	v_pk_add_f32 v[60:61], v[60:61], v[56:57]
	v_pk_fma_f32 v[80:81], v[62:63], s[16:17], v[80:81] op_sel_hi:[1,0,1]
	v_pk_fma_f32 v[26:27], v[30:31], s[16:17], v[26:27] op_sel_hi:[1,0,1]
	v_pk_fma_f32 v[24:25], v[18:19], s[16:17], v[20:21] op_sel:[0,0,1] op_sel_hi:[1,0,0]
	v_pk_fma_f32 v[18:19], v[18:19], s[16:17], v[20:21] op_sel:[0,0,1] op_sel_hi:[1,0,0] neg_lo:[0,0,1] neg_hi:[0,0,1]
	v_pk_add_f32 v[60:61], v[60:61], v[64:65]
	v_mov_b32_e32 v20, v25
	v_mov_b32_e32 v21, v18
	v_pk_mul_f32 v[18:19], v[26:27], s[16:17] op_sel_hi:[1,0]
	v_pk_mul_f32 v[24:25], v[80:81], s[18:19] op_sel_hi:[1,0]
	v_pk_add_f32 v[82:83], v[60:61], v[66:67]
	v_pk_add_f32 v[62:63], v[28:29], v[58:59]
	;; [unrolled: 1-line block ×3, first 2 shown]
	v_pk_fma_f32 v[18:19], v[26:27], s[2:3], v[18:19] op_sel:[0,0,1] op_sel_hi:[1,1,0] neg_lo:[0,0,1] neg_hi:[0,0,1]
	v_pk_fma_f32 v[24:25], v[80:81], s[0:1], v[24:25] op_sel:[0,0,1] op_sel_hi:[1,1,0] neg_lo:[0,0,1] neg_hi:[0,0,1]
	v_pk_add_f32 v[56:57], v[28:29], v[58:59] neg_lo:[0,1] neg_hi:[0,1]
	v_pk_add_f32 v[58:59], v[16:17], v[20:21] neg_lo:[0,1] neg_hi:[0,1]
	s_movk_i32 s0, 0xaa
	v_mul_u32_u24_e32 v16, 0xaa, v71
	v_pk_add_f32 v[60:61], v[54:55], v[82:83] op_sel:[0,1] op_sel_hi:[1,0]
	v_pk_add_f32 v[50:51], v[22:23], v[18:19]
	v_pk_add_f32 v[52:53], v[68:69], v[24:25]
	v_pk_add_f32 v[54:55], v[54:55], v[82:83] op_sel:[0,1] op_sel_hi:[1,0] neg_lo:[0,1] neg_hi:[0,1]
	v_pk_add_f32 v[64:65], v[22:23], v[18:19] neg_lo:[0,1] neg_hi:[0,1]
	v_pk_add_f32 v[66:67], v[68:69], v[24:25] neg_lo:[0,1] neg_hi:[0,1]
	v_add_lshl_u32 v238, v16, v76, 3
	v_cmp_gt_u16_e64 s[2:3], s0, v180
	ds_write2_b64 v238, v[60:61], v[62:63] offset1:17
	ds_write2_b64 v238, v[48:49], v[50:51] offset0:34 offset1:51
	ds_write2_b64 v238, v[52:53], v[54:55] offset0:68 offset1:85
	;; [unrolled: 1-line block ×4, first 2 shown]
	s_waitcnt lgkmcnt(0)
	s_barrier
	s_and_saveexec_b64 s[0:1], s[2:3]
	s_cbranch_execz .LBB0_9
; %bb.8:
	v_add_u32_e32 v16, 0x800, v70
	ds_read2_b64 v[48:51], v16 offset0:84 offset1:254
	v_add_u32_e32 v16, 0x1400, v70
	ds_read2_b64 v[52:55], v16 offset0:40 offset1:210
	;; [unrolled: 2-line block ×3, first 2 shown]
	v_add_u32_e32 v16, 0x2800, v70
	ds_read2_b64 v[60:63], v70 offset1:170
	ds_read2_b64 v[64:67], v16 offset0:80 offset1:250
	ds_read_b64 v[44:45], v70 offset:13600
.LBB0_9:
	s_or_b64 exec, exec, s[0:1]
	v_add_u32_e32 v16, 0xffffff56, v180
	v_cndmask_b32_e64 v16, v16, v180, s[2:3]
	v_mul_hi_i32_i24_e32 v17, 0x50, v16
	v_mul_i32_i24_e32 v16, 0x50, v16
	v_lshl_add_u64 v[68:69], s[6:7], 0, v[16:17]
	global_load_dwordx4 v[16:19], v[68:69], off offset:1224
	global_load_dwordx4 v[24:27], v[68:69], off offset:1240
	;; [unrolled: 1-line block ×5, first 2 shown]
	s_waitcnt lgkmcnt(2)
	v_mov_b32_e32 v68, v63
	v_mov_b32_e32 v72, v49
	;; [unrolled: 1-line block ×5, first 2 shown]
	s_waitcnt lgkmcnt(1)
	v_mov_b32_e32 v90, v67
	v_mov_b32_e32 v82, v55
	;; [unrolled: 1-line block ×5, first 2 shown]
	s_waitcnt lgkmcnt(0)
	v_mov_b32_e32 v92, v45
	s_mov_b32 s0, 0xbf7d64f0
	s_mov_b32 s1, 0xbe11bafb
	;; [unrolled: 1-line block ×32, first 2 shown]
	s_waitcnt vmcnt(4)
	v_pk_mul_f32 v[96:97], v[62:63], v[16:17]
	s_nop 0
	v_mov_b32_e32 v96, v17
	v_pk_mul_f32 v[98:99], v[48:49], v[18:19]
	s_waitcnt vmcnt(3)
	v_pk_mul_f32 v[102:103], v[52:53], v[26:27]
	v_mov_b32_e32 v98, v19
	v_pk_mul_f32 v[100:101], v[50:51], v[24:25]
	v_mov_b32_e32 v102, v27
	s_waitcnt vmcnt(0)
	v_pk_mul_f32 v[112:113], v[66:67], v[36:37]
	v_mov_b32_e32 v116, v97
	v_pk_mul_f32 v[96:97], v[62:63], v[96:97]
	v_mov_b32_e32 v100, v25
	v_mov_b32_e32 v112, v37
	;; [unrolled: 1-line block ×3, first 2 shown]
	v_pk_mul_f32 v[98:99], v[48:49], v[98:99]
	v_mov_b32_e32 v122, v103
	v_pk_mul_f32 v[102:103], v[52:53], v[102:103]
	v_mov_b32_e32 v132, v113
	v_pk_fma_f32 v[62:63], v[62:63], v[16:17], v[116:117] neg_lo:[0,0,1] neg_hi:[0,0,1]
	v_pk_fma_f32 v[68:69], v[68:69], v[16:17], v[96:97]
	v_pk_mul_f32 v[104:105], v[54:55], v[20:21]
	v_mov_b32_e32 v120, v101
	v_pk_mul_f32 v[100:101], v[50:51], v[100:101]
	v_pk_mul_f32 v[112:113], v[66:67], v[112:113]
	v_pk_fma_f32 v[96:97], v[48:49], v[18:19], v[118:119] neg_lo:[0,0,1] neg_hi:[0,0,1]
	v_pk_fma_f32 v[98:99], v[72:73], v[18:19], v[98:99]
	v_pk_fma_f32 v[102:103], v[80:81], v[26:27], v[102:103]
	v_pk_fma_f32 v[80:81], v[66:67], v[36:37], v[132:133] neg_lo:[0,0,1] neg_hi:[0,0,1]
	v_pk_add_f32 v[48:49], v[60:61], v[62:63]
	v_pk_add_f32 v[66:67], v[94:95], v[68:69]
	v_mov_b32_e32 v104, v21
	v_pk_mul_f32 v[106:107], v[56:57], v[22:23]
	v_pk_fma_f32 v[116:117], v[50:51], v[24:25], v[120:121] neg_lo:[0,0,1] neg_hi:[0,0,1]
	v_pk_fma_f32 v[100:101], v[78:79], v[24:25], v[100:101]
	v_pk_add_f32 v[48:49], v[48:49], v[96:97]
	v_pk_add_f32 v[66:67], v[66:67], v[98:99]
	v_mov_b32_e32 v106, v23
	v_pk_mul_f32 v[108:109], v[58:59], v[28:29]
	v_mov_b32_e32 v124, v105
	v_pk_mul_f32 v[104:105], v[54:55], v[104:105]
	v_pk_fma_f32 v[118:119], v[52:53], v[26:27], v[122:123] neg_lo:[0,0,1] neg_hi:[0,0,1]
	v_pk_add_f32 v[48:49], v[48:49], v[116:117]
	v_pk_add_f32 v[66:67], v[66:67], v[100:101]
	v_mov_b32_e32 v108, v29
	v_pk_mul_f32 v[110:111], v[64:65], v[30:31]
	v_mov_b32_e32 v126, v107
	v_pk_mul_f32 v[106:107], v[56:57], v[106:107]
	v_pk_fma_f32 v[54:55], v[54:55], v[20:21], v[124:125] neg_lo:[0,0,1] neg_hi:[0,0,1]
	v_pk_fma_f32 v[50:51], v[82:83], v[20:21], v[104:105]
	v_pk_add_f32 v[48:49], v[48:49], v[118:119]
	v_pk_add_f32 v[66:67], v[66:67], v[102:103]
	v_mov_b32_e32 v110, v31
	v_mov_b32_e32 v128, v109
	v_pk_mul_f32 v[108:109], v[58:59], v[108:109]
	v_pk_fma_f32 v[56:57], v[56:57], v[22:23], v[126:127] neg_lo:[0,0,1] neg_hi:[0,0,1]
	v_pk_fma_f32 v[52:53], v[84:85], v[22:23], v[106:107]
	v_pk_add_f32 v[48:49], v[48:49], v[54:55]
	v_pk_add_f32 v[66:67], v[66:67], v[50:51]
	v_mov_b32_e32 v130, v111
	v_pk_mul_f32 v[110:111], v[64:65], v[110:111]
	v_pk_fma_f32 v[58:59], v[58:59], v[28:29], v[128:129] neg_lo:[0,0,1] neg_hi:[0,0,1]
	v_pk_fma_f32 v[82:83], v[86:87], v[28:29], v[108:109]
	v_pk_add_f32 v[48:49], v[48:49], v[56:57]
	v_pk_add_f32 v[66:67], v[66:67], v[52:53]
	v_pk_mul_f32 v[114:115], v[44:45], v[38:39]
	v_pk_fma_f32 v[84:85], v[64:65], v[30:31], v[130:131] neg_lo:[0,0,1] neg_hi:[0,0,1]
	v_pk_fma_f32 v[86:87], v[88:89], v[30:31], v[110:111]
	v_pk_add_f32 v[48:49], v[48:49], v[58:59]
	v_pk_add_f32 v[66:67], v[66:67], v[82:83]
	v_mov_b32_e32 v114, v39
	v_mov_b32_e32 v134, v115
	v_pk_fma_f32 v[88:89], v[90:91], v[36:37], v[112:113]
	v_pk_add_f32 v[48:49], v[48:49], v[84:85]
	v_pk_add_f32 v[66:67], v[66:67], v[86:87]
	v_pk_mul_f32 v[114:115], v[44:45], v[114:115]
	v_pk_fma_f32 v[44:45], v[44:45], v[38:39], v[134:135] neg_lo:[0,0,1] neg_hi:[0,0,1]
	v_mov_b32_e32 v49, v66
	v_mov_b32_e32 v66, v80
	;; [unrolled: 1-line block ×3, first 2 shown]
	v_pk_fma_f32 v[64:65], v[92:93], v[38:39], v[114:115]
	v_pk_add_f32 v[48:49], v[48:49], v[66:67]
	v_mov_b32_e32 v66, v44
	v_pk_add_f32 v[90:91], v[62:63], v[44:45]
	v_pk_add_f32 v[44:45], v[62:63], v[44:45] neg_lo:[0,1] neg_hi:[0,1]
	v_mov_b32_e32 v67, v64
	v_mov_b32_e32 v91, v44
	v_pk_add_f32 v[44:45], v[68:69], v[64:65] neg_lo:[0,1] neg_hi:[0,1]
	v_pk_add_f32 v[62:63], v[68:69], v[64:65]
	v_pk_add_f32 v[108:109], v[96:97], v[80:81]
	v_pk_add_f32 v[80:81], v[96:97], v[80:81] neg_lo:[0,1] neg_hi:[0,1]
	v_pk_add_f32 v[48:49], v[48:49], v[66:67]
	v_mov_b32_e32 v66, v44
	v_mov_b32_e32 v67, v62
	v_pk_mul_f32 v[62:63], v[90:91], s[16:17]
	v_mov_b32_e32 v109, v80
	v_pk_add_f32 v[96:97], v[98:99], v[88:89] neg_lo:[0,1] neg_hi:[0,1]
	v_pk_add_f32 v[88:89], v[98:99], v[88:89]
	v_pk_fma_f32 v[64:65], v[44:45], s[0:1], v[62:63] neg_lo:[1,0,0] neg_hi:[1,0,0]
	v_pk_fma_f32 v[92:93], v[66:67], s[0:1], v[62:63]
	v_mov_b32_e32 v80, v96
	v_mov_b32_e32 v81, v88
	v_pk_mul_f32 v[88:89], v[90:91], s[36:37]
	v_pk_mul_f32 v[120:121], v[108:109], s[42:43]
	v_mov_b32_e32 v65, v93
	v_pk_fma_f32 v[98:99], v[44:45], s[24:25], v[88:89] neg_lo:[1,0,0] neg_hi:[1,0,0]
	v_pk_fma_f32 v[110:111], v[66:67], s[24:25], v[88:89]
	v_pk_fma_f32 v[88:89], v[66:67], s[24:25], v[88:89] neg_lo:[0,0,1] neg_hi:[0,0,1]
	v_pk_fma_f32 v[122:123], v[96:97], s[38:39], v[120:121] neg_lo:[1,0,0] neg_hi:[1,0,0]
	v_pk_fma_f32 v[124:125], v[80:81], s[38:39], v[120:121]
	v_pk_add_f32 v[94:95], v[60:61], v[64:65]
	v_pk_mul_f32 v[68:69], v[90:91], s[22:23]
	v_mov_b32_e32 v99, v111
	v_mov_b32_e32 v111, v89
	;; [unrolled: 1-line block ×3, first 2 shown]
	v_pk_fma_f32 v[72:73], v[44:45], s[6:7], v[68:69] neg_lo:[1,0,0] neg_hi:[1,0,0]
	v_pk_fma_f32 v[64:65], v[66:67], s[6:7], v[68:69]
	v_pk_add_f32 v[88:89], v[60:61], v[110:111]
	v_pk_mul_f32 v[110:111], v[108:109], s[40:41]
	v_pk_add_f32 v[94:95], v[122:123], v[94:95]
	v_pk_mul_f32 v[122:123], v[108:109], s[44:45]
	v_mov_b32_e32 v73, v65
	v_pk_mul_f32 v[78:79], v[90:91], s[30:31]
	v_pk_fma_f32 v[112:113], v[96:97], s[20:21], v[110:111] neg_lo:[1,0,0] neg_hi:[1,0,0]
	v_pk_fma_f32 v[114:115], v[80:81], s[20:21], v[110:111]
	v_pk_fma_f32 v[110:111], v[80:81], s[20:21], v[110:111] neg_lo:[0,0,1] neg_hi:[0,0,1]
	v_pk_fma_f32 v[126:127], v[96:97], s[28:29], v[122:123] neg_lo:[1,0,0] neg_hi:[1,0,0]
	v_pk_fma_f32 v[128:129], v[80:81], s[28:29], v[122:123]
	v_pk_add_f32 v[104:105], v[60:61], v[72:73]
	v_pk_fma_f32 v[106:107], v[44:45], s[18:19], v[78:79] neg_lo:[1,0,0] neg_hi:[1,0,0]
	v_pk_fma_f32 v[72:73], v[66:67], s[18:19], v[78:79]
	v_pk_add_f32 v[98:99], v[60:61], v[98:99]
	v_mov_b32_e32 v113, v115
	v_mov_b32_e32 v115, v111
	v_pk_mul_f32 v[110:111], v[108:109], s[22:23]
	v_mov_b32_e32 v127, v129
	v_pk_mul_f32 v[108:109], v[108:109], s[34:35]
	v_mov_b32_e32 v107, v73
	v_pk_add_f32 v[98:99], v[112:113], v[98:99]
	v_pk_fma_f32 v[112:113], v[96:97], s[6:7], v[110:111] neg_lo:[1,0,0] neg_hi:[1,0,0]
	v_pk_add_f32 v[104:105], v[126:127], v[104:105]
	v_pk_fma_f32 v[96:97], v[96:97], s[26:27], v[108:109] neg_lo:[1,0,0] neg_hi:[1,0,0]
	v_pk_fma_f32 v[126:127], v[80:81], s[26:27], v[108:109]
	v_pk_add_f32 v[106:107], v[60:61], v[106:107]
	v_mov_b32_e32 v97, v127
	v_pk_add_f32 v[96:97], v[96:97], v[106:107]
	v_pk_add_f32 v[106:107], v[116:117], v[84:85]
	v_pk_add_f32 v[84:85], v[116:117], v[84:85] neg_lo:[0,1] neg_hi:[0,1]
	v_pk_mul_f32 v[90:91], v[90:91], s[40:41]
	v_mov_b32_e32 v107, v84
	v_pk_add_f32 v[84:85], v[100:101], v[86:87] neg_lo:[0,1] neg_hi:[0,1]
	v_pk_add_f32 v[86:87], v[100:101], v[86:87]
	v_mov_b32_e32 v100, v84
	v_mov_b32_e32 v101, v86
	v_pk_mul_f32 v[86:87], v[106:107], s[16:17]
	v_pk_add_f32 v[88:89], v[114:115], v[88:89]
	v_pk_fma_f32 v[116:117], v[84:85], s[0:1], v[86:87] neg_lo:[1,0,0] neg_hi:[1,0,0]
	v_pk_fma_f32 v[130:131], v[100:101], s[0:1], v[86:87]
	v_pk_fma_f32 v[114:115], v[80:81], s[6:7], v[110:111]
	v_mov_b32_e32 v117, v131
	v_pk_add_f32 v[98:99], v[116:117], v[98:99]
	v_pk_mul_f32 v[116:117], v[106:107], s[42:43]
	v_pk_fma_f32 v[44:45], v[44:45], s[20:21], v[90:91] neg_lo:[1,0,0] neg_hi:[1,0,0]
	v_pk_fma_f32 v[136:137], v[66:67], s[20:21], v[90:91]
	v_pk_fma_f32 v[90:91], v[66:67], s[20:21], v[90:91] neg_lo:[0,0,1] neg_hi:[0,0,1]
	v_pk_fma_f32 v[110:111], v[80:81], s[6:7], v[110:111] neg_lo:[0,0,1] neg_hi:[0,0,1]
	s_mov_b32 s20, 0x3f68dda4
	v_mov_b32_e32 v113, v115
	v_pk_fma_f32 v[132:133], v[84:85], s[38:39], v[116:117] neg_lo:[1,0,0] neg_hi:[1,0,0]
	v_pk_fma_f32 v[134:135], v[100:101], s[38:39], v[116:117]
	v_mov_b32_e32 v45, v137
	v_mov_b32_e32 v137, v91
	;; [unrolled: 1-line block ×3, first 2 shown]
	v_pk_fma_f32 v[110:111], v[100:101], s[38:39], v[116:117] neg_lo:[0,0,1] neg_hi:[0,0,1]
	s_mov_b32 s41, s20
	v_mov_b32_e32 v133, v135
	v_pk_add_f32 v[44:45], v[60:61], v[44:45]
	v_pk_add_f32 v[90:91], v[60:61], v[136:137]
	v_mov_b32_e32 v135, v111
	v_pk_mul_f32 v[110:111], v[106:107], s[40:41]
	v_pk_add_f32 v[44:45], v[112:113], v[44:45]
	v_pk_add_f32 v[90:91], v[114:115], v[90:91]
	v_pk_fma_f32 v[112:113], v[84:85], s[20:21], v[110:111] neg_lo:[1,0,0] neg_hi:[1,0,0]
	v_pk_fma_f32 v[114:115], v[100:101], s[20:21], v[110:111]
	v_pk_add_f32 v[44:45], v[132:133], v[44:45]
	v_mov_b32_e32 v113, v115
	v_pk_add_f32 v[94:95], v[112:113], v[94:95]
	v_pk_mul_f32 v[112:113], v[106:107], s[36:37]
	v_pk_mul_f32 v[106:107], v[106:107], s[22:23]
	v_pk_fma_f32 v[116:117], v[84:85], s[24:25], v[112:113] neg_lo:[1,0,0] neg_hi:[1,0,0]
	v_pk_fma_f32 v[132:133], v[100:101], s[24:25], v[112:113]
	v_pk_fma_f32 v[84:85], v[84:85], s[6:7], v[106:107] neg_lo:[1,0,0] neg_hi:[1,0,0]
	v_mov_b32_e32 v117, v133
	v_pk_add_f32 v[104:105], v[116:117], v[104:105]
	v_pk_fma_f32 v[116:117], v[100:101], s[6:7], v[106:107]
	v_pk_add_f32 v[90:91], v[134:135], v[90:91]
	v_mov_b32_e32 v85, v117
	v_pk_add_f32 v[84:85], v[84:85], v[96:97]
	v_pk_add_f32 v[96:97], v[118:119], v[58:59]
	v_pk_add_f32 v[58:59], v[118:119], v[58:59] neg_lo:[0,1] neg_hi:[0,1]
	v_pk_fma_f32 v[62:63], v[66:67], s[0:1], v[62:63] neg_lo:[0,0,1] neg_hi:[0,0,1]
	v_mov_b32_e32 v97, v58
	v_pk_add_f32 v[58:59], v[102:103], v[82:83] neg_lo:[0,1] neg_hi:[0,1]
	v_pk_add_f32 v[82:83], v[102:103], v[82:83]
	v_mov_b32_e32 v102, v58
	v_mov_b32_e32 v103, v82
	v_pk_mul_f32 v[82:83], v[96:97], s[22:23]
	v_mov_b32_e32 v93, v63
	v_pk_fma_f32 v[118:119], v[58:59], s[6:7], v[82:83] neg_lo:[1,0,0] neg_hi:[1,0,0]
	v_pk_fma_f32 v[134:135], v[102:103], s[6:7], v[82:83]
	v_pk_add_f32 v[62:63], v[60:61], v[92:93]
	v_mov_b32_e32 v119, v135
	v_pk_add_f32 v[98:99], v[118:119], v[98:99]
	v_pk_mul_f32 v[118:119], v[96:97], s[44:45]
	v_pk_fma_f32 v[92:93], v[80:81], s[38:39], v[120:121] neg_lo:[0,0,1] neg_hi:[0,0,1]
	v_pk_fma_f32 v[136:137], v[58:59], s[28:29], v[118:119] neg_lo:[1,0,0] neg_hi:[1,0,0]
	v_pk_fma_f32 v[138:139], v[102:103], s[28:29], v[118:119]
	v_mov_b32_e32 v125, v93
	v_mov_b32_e32 v137, v139
	v_pk_add_f32 v[136:137], v[136:137], v[44:45]
	v_pk_fma_f32 v[44:45], v[102:103], s[28:29], v[118:119] neg_lo:[0,0,1] neg_hi:[0,0,1]
	v_pk_mul_f32 v[118:119], v[96:97], s[36:37]
	v_pk_fma_f32 v[92:93], v[100:101], s[20:21], v[110:111] neg_lo:[0,0,1] neg_hi:[0,0,1]
	v_pk_fma_f32 v[140:141], v[58:59], s[24:25], v[118:119] neg_lo:[1,0,0] neg_hi:[1,0,0]
	v_pk_fma_f32 v[142:143], v[102:103], s[24:25], v[118:119]
	v_mov_b32_e32 v115, v93
	v_pk_fma_f32 v[92:93], v[102:103], s[24:25], v[118:119] neg_lo:[0,0,1] neg_hi:[0,0,1]
	v_mov_b32_e32 v141, v143
	v_pk_add_f32 v[62:63], v[124:125], v[62:63]
	v_mov_b32_e32 v143, v93
	v_pk_mul_f32 v[92:93], v[96:97], s[30:31]
	v_pk_add_f32 v[118:119], v[54:55], v[56:57]
	v_pk_add_f32 v[54:55], v[54:55], v[56:57] neg_lo:[0,1] neg_hi:[0,1]
	v_pk_add_f32 v[120:121], v[50:51], v[52:53] neg_lo:[0,1] neg_hi:[0,1]
	v_pk_add_f32 v[50:51], v[50:51], v[52:53]
	v_pk_fma_f32 v[86:87], v[100:101], s[0:1], v[86:87] neg_lo:[0,0,1] neg_hi:[0,0,1]
	v_pk_add_f32 v[62:63], v[114:115], v[62:63]
	v_pk_fma_f32 v[110:111], v[58:59], s[18:19], v[92:93] neg_lo:[1,0,0] neg_hi:[1,0,0]
	v_pk_fma_f32 v[114:115], v[102:103], s[18:19], v[92:93]
	v_mov_b32_e32 v125, v50
	v_mov_b32_e32 v139, v45
	;; [unrolled: 1-line block ×5, first 2 shown]
	v_pk_fma_f32 v[82:83], v[102:103], s[6:7], v[82:83] neg_lo:[0,0,1] neg_hi:[0,0,1]
	v_mov_b32_e32 v111, v115
	v_pk_mul_f32 v[96:97], v[96:97], s[40:41]
	v_mov_b32_e32 v131, v87
	v_mov_b32_e32 v44, v118
	v_pk_mul_f32 v[50:51], v[50:51], s[18:19] op_sel_hi:[1,0]
	v_pk_add_f32 v[104:105], v[110:111], v[104:105]
	v_pk_fma_f32 v[58:59], v[58:59], s[20:21], v[96:97] neg_lo:[1,0,0] neg_hi:[1,0,0]
	v_pk_fma_f32 v[110:111], v[102:103], s[20:21], v[96:97]
	v_mov_b32_e32 v119, v54
	v_pk_add_f32 v[52:53], v[130:131], v[88:89]
	v_mov_b32_e32 v135, v83
	v_pk_fma_f32 v[54:55], v[44:45], s[30:31], v[50:51] op_sel_hi:[1,0,1] neg_lo:[0,0,1] neg_hi:[0,0,1]
	v_pk_fma_f32 v[44:45], v[44:45], s[30:31], v[50:51] op_sel_hi:[1,0,1]
	v_mov_b32_e32 v59, v111
	v_mov_b32_e32 v124, v120
	v_pk_add_f32 v[52:53], v[134:135], v[52:53]
	v_mov_b32_e32 v50, v54
	v_mov_b32_e32 v51, v45
	;; [unrolled: 1-line block ×3, first 2 shown]
	v_pk_mul_f32 v[54:55], v[118:119], s[34:35]
	v_pk_add_f32 v[84:85], v[58:59], v[84:85]
	v_pk_add_f32 v[44:45], v[44:45], v[52:53]
	v_pk_fma_f32 v[52:53], v[120:121], s[26:27], v[54:55] neg_lo:[1,0,0] neg_hi:[1,0,0]
	v_pk_fma_f32 v[58:59], v[124:125], s[26:27], v[54:55]
	v_pk_fma_f32 v[54:55], v[124:125], s[26:27], v[54:55] neg_lo:[0,0,1] neg_hi:[0,0,1]
	v_pk_add_f32 v[56:57], v[138:139], v[90:91]
	v_mov_b32_e32 v53, v59
	v_mov_b32_e32 v59, v55
	v_pk_add_f32 v[58:59], v[58:59], v[56:57]
	v_pk_mul_f32 v[56:57], v[118:119], s[22:23]
	v_pk_fma_f32 v[68:69], v[66:67], s[6:7], v[68:69] neg_lo:[0,0,1] neg_hi:[0,0,1]
	v_pk_fma_f32 v[54:55], v[120:121], s[6:7], v[56:57] neg_lo:[1,0,0] neg_hi:[1,0,0]
	v_pk_fma_f32 v[82:83], v[124:125], s[6:7], v[56:57]
	v_pk_fma_f32 v[56:57], v[124:125], s[6:7], v[56:57] neg_lo:[0,0,1] neg_hi:[0,0,1]
	v_mov_b32_e32 v65, v69
	v_pk_fma_f32 v[68:69], v[80:81], s[28:29], v[122:123] neg_lo:[0,0,1] neg_hi:[0,0,1]
	v_pk_add_f32 v[62:63], v[142:143], v[62:63]
	v_mov_b32_e32 v55, v83
	v_mov_b32_e32 v83, v57
	v_pk_add_f32 v[64:65], v[60:61], v[64:65]
	v_mov_b32_e32 v129, v69
	v_pk_fma_f32 v[68:69], v[100:101], s[24:25], v[112:113] neg_lo:[0,0,1] neg_hi:[0,0,1]
	v_pk_fma_f32 v[66:67], v[66:67], s[18:19], v[78:79] neg_lo:[0,0,1] neg_hi:[0,0,1]
	v_pk_add_f32 v[56:57], v[82:83], v[62:63]
	v_pk_mul_f32 v[82:83], v[118:119], s[40:41]
	v_pk_add_f32 v[64:65], v[128:129], v[64:65]
	v_mov_b32_e32 v133, v69
	v_pk_fma_f32 v[68:69], v[102:103], s[18:19], v[92:93] neg_lo:[0,0,1] neg_hi:[0,0,1]
	v_mov_b32_e32 v73, v67
	v_pk_fma_f32 v[66:67], v[80:81], s[26:27], v[108:109] neg_lo:[0,0,1] neg_hi:[0,0,1]
	v_pk_fma_f32 v[62:63], v[120:121], s[20:21], v[82:83] neg_lo:[1,0,0] neg_hi:[1,0,0]
	v_pk_fma_f32 v[86:87], v[124:125], s[20:21], v[82:83]
	v_pk_add_f32 v[64:65], v[132:133], v[64:65]
	v_mov_b32_e32 v115, v69
	v_pk_fma_f32 v[68:69], v[124:125], s[20:21], v[82:83] neg_lo:[0,0,1] neg_hi:[0,0,1]
	v_pk_add_f32 v[60:61], v[60:61], v[72:73]
	v_mov_b32_e32 v127, v67
	v_pk_fma_f32 v[66:67], v[100:101], s[6:7], v[106:107] neg_lo:[0,0,1] neg_hi:[0,0,1]
	v_mov_b32_e32 v63, v87
	v_pk_add_f32 v[64:65], v[114:115], v[64:65]
	v_mov_b32_e32 v87, v69
	v_pk_mul_f32 v[82:83], v[118:119], s[16:17]
	v_pk_add_f32 v[60:61], v[126:127], v[60:61]
	v_mov_b32_e32 v117, v67
	v_pk_fma_f32 v[66:67], v[102:103], s[20:21], v[96:97] neg_lo:[0,0,1] neg_hi:[0,0,1]
	v_pk_add_f32 v[68:69], v[86:87], v[64:65]
	v_pk_fma_f32 v[64:65], v[120:121], s[0:1], v[82:83] neg_lo:[1,0,0] neg_hi:[1,0,0]
	v_pk_fma_f32 v[86:87], v[124:125], s[0:1], v[82:83]
	v_pk_add_f32 v[60:61], v[116:117], v[60:61]
	v_mov_b32_e32 v111, v67
	v_pk_fma_f32 v[66:67], v[124:125], s[0:1], v[82:83] neg_lo:[0,0,1] neg_hi:[0,0,1]
	v_pk_add_f32 v[94:95], v[140:141], v[94:95]
	v_mov_b32_e32 v65, v87
	v_pk_add_f32 v[60:61], v[110:111], v[60:61]
	v_mov_b32_e32 v87, v67
	v_pk_add_f32 v[50:51], v[50:51], v[98:99]
	v_pk_add_f32 v[52:53], v[52:53], v[136:137]
	;; [unrolled: 1-line block ×6, first 2 shown]
	s_mov_b64 s[0:1], exec
	v_accvgpr_read_b32 v137, a3
	s_and_b64 s[6:7], s[0:1], s[2:3]
	v_accvgpr_read_b32 v136, a2
	s_mov_b64 exec, s[6:7]
	s_cbranch_execz .LBB0_11
; %bb.10:
	v_add_u32_e32 v60, 0x800, v70
	ds_write2_b64 v60, v[52:53], v[54:55] offset0:84 offset1:254
	v_add_u32_e32 v60, 0x1400, v70
	ds_write2_b64 v60, v[62:63], v[64:65] offset0:40 offset1:210
	;; [unrolled: 2-line block ×3, first 2 shown]
	v_add_u32_e32 v60, 0x2800, v70
	ds_write2_b64 v70, v[48:49], v[50:51] offset1:170
	ds_write2_b64 v60, v[56:57], v[58:59] offset0:80 offset1:250
	ds_write_b64 v70, v[44:45] offset:13600
.LBB0_11:
	s_or_b64 exec, exec, s[0:1]
	s_waitcnt lgkmcnt(0)
	s_barrier
	s_and_saveexec_b64 s[0:1], s[4:5]
	s_cbranch_execz .LBB0_13
; %bb.12:
	v_mov_b32_e32 v71, 0
	v_lshl_add_u64 v[60:61], s[12:13], 0, v[70:71]
	v_add_co_u32_e32 v72, vcc, 0x3000, v60
	s_mov_b64 s[6:7], 0x3a70
	s_nop 0
	v_addc_co_u32_e32 v73, vcc, 0, v61, vcc
	global_load_dwordx2 v[72:73], v[72:73], off offset:2672
	v_lshl_add_u64 v[78:79], v[60:61], 0, s[6:7]
	s_movk_i32 s6, 0x4000
	global_load_dwordx2 v[98:99], v[78:79], off offset:880
	global_load_dwordx2 v[100:101], v[78:79], off offset:1760
	;; [unrolled: 1-line block ×4, first 2 shown]
	v_add_co_u32_e32 v78, vcc, s6, v60
	s_movk_i32 s6, 0x5000
	s_nop 0
	v_addc_co_u32_e32 v79, vcc, 0, v61, vcc
	global_load_dwordx2 v[106:107], v[78:79], off offset:2976
	global_load_dwordx2 v[108:109], v[78:79], off offset:3856
	v_add_co_u32_e32 v78, vcc, s6, v60
	s_movk_i32 s6, 0x6000
	s_nop 0
	v_addc_co_u32_e32 v79, vcc, 0, v61, vcc
	global_load_dwordx2 v[110:111], v[78:79], off offset:640
	global_load_dwordx2 v[112:113], v[78:79], off offset:1520
	global_load_dwordx2 v[114:115], v[78:79], off offset:2400
	global_load_dwordx2 v[116:117], v[78:79], off offset:3280
	v_add_co_u32_e32 v78, vcc, s6, v60
	v_add_u32_e32 v71, 0x800, v70
	s_nop 0
	v_addc_co_u32_e32 v79, vcc, 0, v61, vcc
	global_load_dwordx2 v[118:119], v[78:79], off offset:64
	global_load_dwordx2 v[120:121], v[78:79], off offset:944
	global_load_dwordx2 v[122:123], v[78:79], off offset:1824
	ds_read_b64 v[80:81], v70
	global_load_dwordx2 v[124:125], v[78:79], off offset:2704
	global_load_dwordx2 v[126:127], v[78:79], off offset:3584
	v_add_co_u32_e32 v60, vcc, 0x7000, v60
	v_add_u32_e32 v76, 0x1000, v70
	s_nop 0
	v_addc_co_u32_e32 v61, vcc, 0, v61, vcc
	global_load_dwordx2 v[60:61], v[60:61], off offset:368
	v_add_u32_e32 v77, 0x1800, v70
	v_add_u32_e32 v128, 0x1c00, v70
	s_waitcnt vmcnt(16) lgkmcnt(0)
	v_mul_f32_e32 v78, v81, v73
	v_mul_f32_e32 v79, v80, v73
	v_fma_f32 v78, v80, v72, -v78
	v_fmac_f32_e32 v79, v81, v72
	ds_write_b64 v70, v[78:79]
	ds_read2_b64 v[78:81], v70 offset0:110 offset1:220
	ds_read2_b64 v[82:85], v71 offset0:74 offset1:184
	;; [unrolled: 1-line block ×5, first 2 shown]
	s_waitcnt vmcnt(15) lgkmcnt(4)
	v_mul_f32_e32 v72, v79, v99
	v_mul_f32_e32 v73, v78, v99
	s_waitcnt vmcnt(14)
	v_mul_f32_e32 v129, v81, v101
	v_mul_f32_e32 v99, v80, v101
	s_waitcnt vmcnt(13) lgkmcnt(3)
	v_mul_f32_e32 v130, v83, v103
	v_mul_f32_e32 v101, v82, v103
	s_waitcnt vmcnt(12)
	v_mul_f32_e32 v131, v85, v105
	v_mul_f32_e32 v103, v84, v105
	;; [unrolled: 6-line block ×3, first 2 shown]
	s_waitcnt vmcnt(9) lgkmcnt(1)
	v_mul_f32_e32 v134, v91, v111
	v_mul_f32_e32 v109, v90, v111
	s_waitcnt vmcnt(8)
	v_mul_f32_e32 v111, v93, v113
	v_fma_f32 v72, v78, v98, -v72
	v_fmac_f32_e32 v73, v79, v98
	v_fma_f32 v98, v80, v100, -v129
	v_fmac_f32_e32 v99, v81, v100
	v_mul_f32_e32 v79, v92, v113
	v_fma_f32 v100, v82, v102, -v130
	v_fmac_f32_e32 v101, v83, v102
	v_fma_f32 v102, v84, v104, -v131
	v_fmac_f32_e32 v103, v85, v104
	;; [unrolled: 2-line block ×5, first 2 shown]
	v_fma_f32 v78, v92, v112, -v111
	ds_write2_b64 v70, v[72:73], v[98:99] offset0:110 offset1:220
	ds_write2_b64 v71, v[100:101], v[102:103] offset0:74 offset1:184
	;; [unrolled: 1-line block ×3, first 2 shown]
	v_fmac_f32_e32 v79, v93, v112
	v_add_u32_e32 v76, 0x2400, v70
	ds_write2_b64 v77, v[108:109], v[78:79] offset0:2 offset1:112
	ds_read2_b64 v[78:81], v76 offset0:58 offset1:168
	s_waitcnt vmcnt(7) lgkmcnt(5)
	v_mul_f32_e32 v71, v95, v115
	v_fma_f32 v72, v94, v114, -v71
	v_mul_f32_e32 v73, v94, v115
	s_waitcnt vmcnt(6)
	v_mul_f32_e32 v71, v97, v117
	v_mul_f32_e32 v83, v96, v117
	v_fmac_f32_e32 v73, v95, v114
	v_fma_f32 v82, v96, v116, -v71
	v_fmac_f32_e32 v83, v97, v116
	ds_write2_b64 v128, v[72:73], v[82:83] offset0:94 offset1:204
	s_waitcnt vmcnt(5) lgkmcnt(1)
	v_mul_f32_e32 v71, v79, v119
	v_mul_f32_e32 v73, v78, v119
	v_add_u32_e32 v77, 0x2c00, v70
	v_fma_f32 v72, v78, v118, -v71
	v_fmac_f32_e32 v73, v79, v118
	s_waitcnt vmcnt(4)
	v_mul_f32_e32 v71, v81, v121
	ds_read2_b64 v[82:85], v77 offset0:22 offset1:132
	v_mul_f32_e32 v79, v80, v121
	v_fma_f32 v78, v80, v120, -v71
	v_fmac_f32_e32 v79, v81, v120
	ds_write2_b64 v76, v[72:73], v[78:79] offset0:58 offset1:168
	v_add_u32_e32 v76, 0x3000, v70
	ds_read2_b64 v[78:81], v76 offset0:114 offset1:224
	s_waitcnt vmcnt(3) lgkmcnt(2)
	v_mul_f32_e32 v71, v83, v123
	v_mul_f32_e32 v73, v82, v123
	v_fma_f32 v72, v82, v122, -v71
	v_fmac_f32_e32 v73, v83, v122
	s_waitcnt vmcnt(2)
	v_mul_f32_e32 v71, v85, v125
	v_mul_f32_e32 v83, v84, v125
	v_fma_f32 v82, v84, v124, -v71
	v_fmac_f32_e32 v83, v85, v124
	ds_write2_b64 v77, v[72:73], v[82:83] offset0:22 offset1:132
	s_waitcnt vmcnt(1) lgkmcnt(1)
	v_mul_f32_e32 v71, v79, v127
	v_mul_f32_e32 v73, v78, v127
	v_fma_f32 v72, v78, v126, -v71
	v_fmac_f32_e32 v73, v79, v126
	s_waitcnt vmcnt(0)
	v_mul_f32_e32 v71, v81, v61
	v_mul_f32_e32 v79, v80, v61
	v_fma_f32 v78, v80, v60, -v71
	v_fmac_f32_e32 v79, v81, v60
	ds_write2_b64 v76, v[72:73], v[78:79] offset0:114 offset1:224
.LBB0_13:
	s_or_b64 exec, exec, s[0:1]
	s_waitcnt lgkmcnt(0)
	s_barrier
	s_and_saveexec_b64 s[0:1], s[4:5]
	s_cbranch_execz .LBB0_15
; %bb.14:
	v_add_u32_e32 v32, 0x400, v70
	ds_read2_b64 v[52:55], v32 offset0:92 offset1:202
	v_add_u32_e32 v32, 0xc00, v70
	ds_read2_b64 v[62:65], v32 offset0:56 offset1:166
	;; [unrolled: 2-line block ×6, first 2 shown]
	v_add_u32_e32 v32, 0x3000, v70
	ds_read2_b64 v[48:51], v70 offset1:110
	ds_read2_b64 v[32:35], v32 offset0:4 offset1:114
	ds_read_b64 v[136:137], v70 offset:14080
.LBB0_15:
	s_or_b64 exec, exec, s[0:1]
	s_waitcnt lgkmcnt(1)
	v_pk_add_f32 v[60:61], v[52:53], v[34:35] neg_lo:[0,1] neg_hi:[0,1]
	v_pk_add_f32 v[122:123], v[52:53], v[34:35]
	v_mov_b32_e32 v97, v60
	v_mov_b32_e32 v96, v122
	v_mov_b32_e32 v122, v61
	v_pk_add_f32 v[60:61], v[54:55], v[32:33] neg_lo:[0,1] neg_hi:[0,1]
	v_pk_add_f32 v[120:121], v[54:55], v[32:33]
	v_mov_b32_e32 v99, v60
	v_mov_b32_e32 v98, v120
	v_mov_b32_e32 v120, v61
	;; [unrolled: 5-line block ×5, first 2 shown]
	v_pk_add_f32 v[60:61], v[68:69], v[44:45] neg_lo:[0,1] neg_hi:[0,1]
	v_pk_add_f32 v[112:113], v[68:69], v[44:45]
	s_waitcnt lgkmcnt(0)
	v_pk_add_f32 v[124:125], v[136:137], v[50:51]
	v_pk_add_f32 v[126:127], v[50:51], v[136:137] neg_lo:[0,1] neg_hi:[0,1]
	v_mov_b32_e32 v106, v112
	v_mov_b32_e32 v107, v60
	;; [unrolled: 1-line block ×3, first 2 shown]
	v_pk_add_f32 v[60:61], v[56:57], v[58:59] neg_lo:[0,1] neg_hi:[0,1]
	v_pk_add_f32 v[110:111], v[56:57], v[58:59]
	s_mov_b32 s42, 0xbf06c442
	v_mov_b32_e32 v108, v110
	v_mov_b32_e32 v109, v60
	;; [unrolled: 1-line block ×5, first 2 shown]
	s_mov_b32 s43, 0xbf59a7d5
	s_mov_b32 s38, 0x3f65296c
	v_pk_mul_f32 v[162:163], v[60:61], s[42:43]
	v_mov_b32_e32 v164, v124
	v_mov_b32_e32 v165, v126
	s_mov_b32 s0, s43
	s_mov_b32 s1, s42
	;; [unrolled: 1-line block ×3, first 2 shown]
	v_pk_fma_f32 v[60:61], v[164:165], s[0:1], v[162:163] neg_lo:[0,0,1] neg_hi:[0,0,1]
	v_pk_fma_f32 v[160:161], v[164:165], s[0:1], v[162:163]
	v_pk_mul_f32 v[166:167], v[122:123], s[38:39]
	s_mov_b32 s16, s39
	s_mov_b32 s17, s38
	v_mov_b32_e32 v61, v161
	v_pk_fma_f32 v[72:73], v[96:97], s[16:17], v[166:167] neg_lo:[0,0,1] neg_hi:[0,0,1]
	v_pk_fma_f32 v[168:169], v[96:97], s[16:17], v[166:167]
	s_mov_b32 s41, 0x3dbcf732
	s_mov_b32 s40, 0xbf7ee86f
	v_pk_add_f32 v[60:61], v[48:49], v[60:61]
	v_mov_b32_e32 v73, v169
	v_pk_mul_f32 v[170:171], v[120:121], s[40:41]
	s_mov_b32 s6, s41
	s_mov_b32 s7, s40
	s_mov_b32 s60, 0x3f4c4adb
	v_pk_add_f32 v[60:61], v[72:73], v[60:61]
	v_pk_fma_f32 v[72:73], v[98:99], s[6:7], v[170:171] neg_lo:[0,0,1] neg_hi:[0,0,1]
	v_pk_fma_f32 v[172:173], v[98:99], s[6:7], v[170:171]
	s_mov_b32 s61, 0xbf1a4643
	v_mov_b32_e32 v73, v173
	v_pk_mul_f32 v[178:179], v[118:119], s[60:61]
	s_mov_b32 s26, s61
	s_mov_b32 s27, s60
	s_mov_b32 s58, 0xbeb8f4ab
	v_pk_add_f32 v[60:61], v[72:73], v[60:61]
	v_pk_fma_f32 v[72:73], v[100:101], s[26:27], v[178:179] neg_lo:[0,0,1] neg_hi:[0,0,1]
	v_pk_fma_f32 v[182:183], v[100:101], s[26:27], v[178:179]
	s_mov_b32 s59, 0x3f6eb680
	;; [unrolled: 9-line block ×5, first 2 shown]
	v_mov_b32_e32 v73, v219
	v_pk_mul_f32 v[222:223], v[110:111], s[50:51]
	s_mov_b32 s22, s51
	s_mov_b32 s23, s50
	v_pk_add_f32 v[60:61], v[72:73], v[60:61]
	v_pk_fma_f32 v[72:73], v[108:109], s[22:23], v[222:223] neg_lo:[0,0,1] neg_hi:[0,0,1]
	v_pk_fma_f32 v[224:225], v[108:109], s[22:23], v[222:223]
	v_mov_b32_e32 v78, v12
	v_mov_b32_e32 v73, v225
	;; [unrolled: 1-line block ×28, first 2 shown]
	v_pk_add_f32 v[156:157], v[72:73], v[60:61]
	s_barrier
	s_and_saveexec_b64 s[20:21], s[4:5]
	s_cbranch_execz .LBB0_17
; %bb.16:
	v_pk_add_f32 v[50:51], v[50:51], v[48:49]
	s_mov_b32 s30, s59
	v_pk_add_f32 v[50:51], v[52:53], v[50:51]
	v_pk_mul_f32 v[60:61], v[126:127], s[58:59] op_sel_hi:[1,0]
	v_pk_add_f32 v[50:51], v[54:55], v[50:51]
	s_mov_b32 s65, s53
	v_pk_add_f32 v[50:51], v[62:63], v[50:51]
	s_mov_b32 s35, 0xbf65296c
	;; [unrolled: 2-line block ×9, first 2 shown]
	v_pk_add_f32 v[40:41], v[40:41], v[44:45]
	v_lshlrev_b32_e32 v71, 3, v176
	v_pk_add_f32 v[40:41], v[42:43], v[40:41]
	s_mov_b32 s44, s53
	v_pk_add_f32 v[32:33], v[32:33], v[40:41]
	v_pk_fma_f32 v[40:41], v[124:125], s[30:31], v[60:61] op_sel:[0,0,1] op_sel_hi:[1,0,0]
	v_pk_add_f32 v[32:33], v[34:35], v[32:33]
	v_pk_fma_f32 v[34:35], v[124:125], s[30:31], v[60:61] op_sel:[0,0,1] op_sel_hi:[1,0,0] neg_lo:[0,0,1] neg_hi:[0,0,1]
	s_mov_b32 s31, 0xbf2c7751
	s_mov_b32 s64, s31
	;; [unrolled: 1-line block ×3, first 2 shown]
	v_pk_mul_f32 v[46:47], v[122:123], s[64:65]
	v_mov_b32_e32 v239, v41
	v_mov_b32_e32 v41, v35
	v_pk_fma_f32 v[44:45], v[96:97], s[30:31], v[46:47]
	v_pk_fma_f32 v[42:43], v[96:97], s[30:31], v[46:47] neg_lo:[1,0,0] neg_hi:[1,0,0]
	v_accvgpr_write_b32 a4, v46
	v_pk_add_f32 v[40:41], v[48:49], v[40:41]
	v_accvgpr_write_b32 a5, v47
	v_mov_b32_e32 v42, v44
	v_pk_mul_f32 v[46:47], v[120:121], s[68:69]
	v_accvgpr_write_b32 a3, v45
	v_pk_add_f32 v[40:41], v[42:43], v[40:41]
	v_pk_fma_f32 v[44:45], v[98:99], s[34:35], v[46:47]
	v_pk_fma_f32 v[42:43], v[98:99], s[34:35], v[46:47] neg_lo:[1,0,0] neg_hi:[1,0,0]
	v_accvgpr_write_b32 a10, v46
	v_accvgpr_write_b32 a11, v47
	v_mov_b32_e32 v42, v44
	v_pk_mul_f32 v[46:47], v[118:119], s[40:41]
	v_accvgpr_write_b32 a7, v45
	v_pk_add_f32 v[40:41], v[42:43], v[40:41]
	v_pk_fma_f32 v[44:45], v[100:101], s[6:7], v[46:47]
	v_pk_fma_f32 v[42:43], v[100:101], s[6:7], v[46:47] neg_lo:[1,0,0] neg_hi:[1,0,0]
	v_accvgpr_write_b32 a14, v46
	;; [unrolled: 8-line block ×5, first 2 shown]
	v_accvgpr_write_b32 a27, v47
	v_mov_b32_e32 v42, v44
	v_pk_mul_f32 v[46:47], v[110:111], s[54:55]
	v_accvgpr_write_b32 a21, v45
	v_pk_add_f32 v[40:41], v[42:43], v[40:41]
	v_pk_fma_f32 v[44:45], v[108:109], s[18:19], v[46:47]
	v_pk_fma_f32 v[42:43], v[108:109], s[18:19], v[46:47] neg_lo:[1,0,0] neg_hi:[1,0,0]
	v_pk_add_f32 v[32:33], v[136:137], v[32:33]
	v_mov_b32_e32 v42, v44
	v_pk_add_f32 v[40:41], v[42:43], v[40:41]
	s_mov_b32 s46, s31
	ds_write2_b64 v71, v[32:33], v[40:41] offset1:1
	v_pk_mul_f32 v[32:33], v[126:127], s[46:47] op_sel_hi:[1,0]
	v_accvgpr_write_b32 a25, v45
	v_pk_fma_f32 v[40:41], v[124:125], s[44:45], v[32:33] op_sel:[0,0,1] op_sel_hi:[1,0,0]
	v_pk_fma_f32 v[130:131], v[124:125], s[44:45], v[32:33] op_sel:[0,0,1] op_sel_hi:[1,0,0] neg_lo:[0,0,1] neg_hi:[0,0,1]
	v_pk_mul_f32 v[44:45], v[122:123], s[40:41]
	v_mov_b32_e32 v32, v40
	v_mov_b32_e32 v35, v41
	;; [unrolled: 1-line block ×3, first 2 shown]
	v_pk_fma_f32 v[42:43], v[96:97], s[6:7], v[44:45]
	v_pk_fma_f32 v[40:41], v[96:97], s[6:7], v[44:45] neg_lo:[1,0,0] neg_hi:[1,0,0]
	v_accvgpr_write_b32 a34, v44
	v_pk_add_f32 v[32:33], v[48:49], v[32:33]
	v_accvgpr_write_b32 a35, v45
	v_mov_b32_e32 v40, v42
	v_pk_mul_f32 v[44:45], v[120:121], s[62:63]
	v_accvgpr_write_b32 a31, v43
	v_pk_add_f32 v[32:33], v[40:41], v[32:33]
	v_pk_fma_f32 v[42:43], v[98:99], s[36:37], v[44:45]
	v_pk_fma_f32 v[40:41], v[98:99], s[36:37], v[44:45] neg_lo:[1,0,0] neg_hi:[1,0,0]
	v_accvgpr_write_b32 a38, v44
	v_accvgpr_write_b32 a39, v45
	v_mov_b32_e32 v40, v42
	v_pk_mul_f32 v[44:45], v[118:119], s[54:55]
	s_mov_b32 s45, 0x3f06c442
	v_accvgpr_write_b32 a33, v43
	v_pk_add_f32 v[32:33], v[40:41], v[32:33]
	v_pk_fma_f32 v[42:43], v[100:101], s[18:19], v[44:45]
	v_pk_fma_f32 v[40:41], v[100:101], s[18:19], v[44:45] neg_lo:[1,0,0] neg_hi:[1,0,0]
	v_accvgpr_write_b32 a40, v44
	s_mov_b32 s72, s45
	s_mov_b32 s73, s43
	v_accvgpr_write_b32 a41, v45
	v_mov_b32_e32 v40, v42
	s_mov_b32 s44, s43
	v_pk_mul_f32 v[44:45], v[116:117], s[72:73]
	s_mov_b32 s47, 0x3f763a35
	v_accvgpr_write_b32 a37, v43
	v_pk_add_f32 v[32:33], v[40:41], v[32:33]
	v_pk_fma_f32 v[42:43], v[102:103], s[44:45], v[44:45]
	v_pk_fma_f32 v[40:41], v[102:103], s[44:45], v[44:45] neg_lo:[1,0,0] neg_hi:[1,0,0]
	s_mov_b32 s70, s47
	s_mov_b32 s71, s51
	v_mov_b32_e32 v40, v42
	s_mov_b32 s46, s51
	v_pk_mul_f32 v[142:143], v[114:115], s[70:71]
	v_accvgpr_write_b32 a43, v43
	v_pk_add_f32 v[32:33], v[40:41], v[32:33]
	v_pk_fma_f32 v[42:43], v[104:105], s[46:47], v[142:143]
	v_pk_fma_f32 v[40:41], v[104:105], s[46:47], v[142:143] neg_lo:[1,0,0] neg_hi:[1,0,0]
	v_pk_mul_f32 v[138:139], v[112:113], s[38:39]
	v_mov_b32_e32 v40, v42
	s_mov_b32 s49, 0x3eb8f4ab
	v_accvgpr_write_b32 a47, v43
	v_pk_add_f32 v[32:33], v[40:41], v[32:33]
	v_pk_fma_f32 v[42:43], v[106:107], s[16:17], v[138:139]
	v_pk_fma_f32 v[40:41], v[106:107], s[16:17], v[138:139] neg_lo:[1,0,0] neg_hi:[1,0,0]
	s_mov_b32 s66, s49
	s_mov_b32 s67, s59
	v_mov_b32_e32 v40, v42
	s_mov_b32 s48, s59
	v_pk_mul_f32 v[136:137], v[110:111], s[66:67]
	v_accvgpr_write_b32 a49, v43
	v_pk_add_f32 v[32:33], v[40:41], v[32:33]
	v_pk_fma_f32 v[42:43], v[108:109], s[48:49], v[136:137]
	v_pk_fma_f32 v[40:41], v[108:109], s[48:49], v[136:137] neg_lo:[1,0,0] neg_hi:[1,0,0]
	s_mov_b32 s74, s35
	v_mov_b32_e32 v40, v42
	v_pk_add_f32 v[32:33], v[40:41], v[32:33]
	s_mov_b32 s56, s39
	v_pk_mul_f32 v[40:41], v[126:127], s[74:75] op_sel_hi:[1,0]
	v_accvgpr_write_b32 a44, v44
	v_accvgpr_write_b32 a51, v43
	v_pk_fma_f32 v[42:43], v[124:125], s[56:57], v[40:41] op_sel:[0,0,1] op_sel_hi:[1,0,0]
	v_pk_fma_f32 v[176:177], v[124:125], s[56:57], v[40:41] op_sel:[0,0,1] op_sel_hi:[1,0,0] neg_lo:[0,0,1] neg_hi:[0,0,1]
	v_pk_mul_f32 v[184:185], v[122:123], s[62:63]
	s_mov_b32 s57, 0x3e3c28d5
	v_accvgpr_write_b32 a45, v45
	v_mov_b32_e32 v40, v42
	v_mov_b32_e32 v131, v43
	;; [unrolled: 1-line block ×3, first 2 shown]
	v_pk_fma_f32 v[44:45], v[96:97], s[36:37], v[184:185]
	v_pk_fma_f32 v[42:43], v[96:97], s[36:37], v[184:185] neg_lo:[1,0,0] neg_hi:[1,0,0]
	s_mov_b32 s74, s57
	s_mov_b32 s75, s55
	v_pk_add_f32 v[40:41], v[48:49], v[40:41]
	v_mov_b32_e32 v42, v44
	s_mov_b32 s56, s55
	v_pk_mul_f32 v[192:193], v[120:121], s[74:75]
	v_accvgpr_write_b32 a53, v45
	v_pk_add_f32 v[40:41], v[42:43], v[40:41]
	v_pk_fma_f32 v[44:45], v[98:99], s[56:57], v[192:193]
	v_pk_fma_f32 v[42:43], v[98:99], s[56:57], v[192:193] neg_lo:[1,0,0] neg_hi:[1,0,0]
	v_pk_mul_f32 v[196:197], v[118:119], s[70:71]
	v_mov_b32_e32 v42, v44
	v_accvgpr_write_b32 a55, v45
	v_pk_add_f32 v[40:41], v[42:43], v[40:41]
	v_pk_fma_f32 v[44:45], v[100:101], s[46:47], v[196:197]
	v_pk_fma_f32 v[42:43], v[100:101], s[46:47], v[196:197] neg_lo:[1,0,0] neg_hi:[1,0,0]
	v_pk_mul_f32 v[204:205], v[116:117], s[52:53]
	v_mov_b32_e32 v42, v44
	;; [unrolled: 6-line block ×5, first 2 shown]
	v_accvgpr_write_b32 a63, v45
	v_pk_add_f32 v[40:41], v[42:43], v[40:41]
	v_pk_fma_f32 v[44:45], v[108:109], s[0:1], v[220:221]
	v_pk_fma_f32 v[42:43], v[108:109], s[0:1], v[220:221] neg_lo:[1,0,0] neg_hi:[1,0,0]
	s_mov_b32 s74, s41
	v_mov_b32_e32 v42, v44
	v_pk_add_f32 v[40:41], v[42:43], v[40:41]
	ds_write2_b64 v71, v[32:33], v[40:41] offset0:2 offset1:3
	v_pk_mul_f32 v[32:33], v[126:127], s[40:41] op_sel_hi:[1,0]
	v_pk_mul_f32 v[232:233], v[122:123], s[54:55]
	v_pk_fma_f32 v[134:135], v[124:125], s[74:75], v[32:33] op_sel:[0,0,1] op_sel_hi:[1,0,0]
	v_pk_fma_f32 v[228:229], v[124:125], s[74:75], v[32:33] op_sel:[0,0,1] op_sel_hi:[1,0,0] neg_lo:[0,0,1] neg_hi:[0,0,1]
	v_mov_b32_e32 v32, v134
	v_mov_b32_e32 v33, v229
	v_pk_fma_f32 v[132:133], v[96:97], s[18:19], v[232:233]
	v_pk_fma_f32 v[40:41], v[96:97], s[18:19], v[232:233] neg_lo:[1,0,0] neg_hi:[1,0,0]
	v_pk_add_f32 v[32:33], v[48:49], v[32:33]
	v_mov_b32_e32 v40, v132
	v_pk_mul_f32 v[236:237], v[120:121], s[70:71]
	v_pk_add_f32 v[32:33], v[40:41], v[32:33]
	v_pk_fma_f32 v[128:129], v[98:99], s[46:47], v[236:237]
	v_pk_fma_f32 v[40:41], v[98:99], s[46:47], v[236:237] neg_lo:[1,0,0] neg_hi:[1,0,0]
	v_pk_mul_f32 v[240:241], v[118:119], s[66:67]
	v_mov_b32_e32 v40, v128
	v_pk_add_f32 v[32:33], v[40:41], v[32:33]
	v_pk_fma_f32 v[68:69], v[100:101], s[48:49], v[240:241]
	v_pk_fma_f32 v[40:41], v[100:101], s[48:49], v[240:241] neg_lo:[1,0,0] neg_hi:[1,0,0]
	v_pk_mul_f32 v[244:245], v[116:117], s[68:69]
	v_mov_b32_e32 v40, v68
	v_pk_add_f32 v[32:33], v[40:41], v[32:33]
	v_pk_fma_f32 v[242:243], v[102:103], s[34:35], v[244:245]
	v_pk_fma_f32 v[40:41], v[102:103], s[34:35], v[244:245] neg_lo:[1,0,0] neg_hi:[1,0,0]
	v_pk_mul_f32 v[248:249], v[114:115], s[42:43]
	v_mov_b32_e32 v40, v242
	v_pk_add_f32 v[32:33], v[40:41], v[32:33]
	v_pk_fma_f32 v[246:247], v[104:105], s[0:1], v[248:249]
	v_pk_fma_f32 v[40:41], v[104:105], s[0:1], v[248:249] neg_lo:[1,0,0] neg_hi:[1,0,0]
	v_pk_mul_f32 v[252:253], v[112:113], s[60:61]
	v_mov_b32_e32 v40, v246
	v_accvgpr_write_b32 a28, v46
	v_pk_add_f32 v[32:33], v[40:41], v[32:33]
	v_pk_fma_f32 v[250:251], v[106:107], s[26:27], v[252:253]
	v_pk_fma_f32 v[40:41], v[106:107], s[26:27], v[252:253] neg_lo:[1,0,0] neg_hi:[1,0,0]
	v_accvgpr_write_b32 a29, v47
	v_mov_b32_e32 v40, v250
	v_pk_mul_f32 v[46:47], v[110:111], s[52:53]
	v_pk_add_f32 v[32:33], v[40:41], v[32:33]
	v_pk_fma_f32 v[254:255], v[108:109], s[28:29], v[46:47]
	v_pk_fma_f32 v[40:41], v[108:109], s[28:29], v[46:47] neg_lo:[1,0,0] neg_hi:[1,0,0]
	s_mov_b32 s40, s51
	v_mov_b32_e32 v40, v254
	v_pk_add_f32 v[152:153], v[40:41], v[32:33]
	v_pk_mul_f32 v[32:33], v[126:127], s[50:51] op_sel_hi:[1,0]
	v_accvgpr_write_b32 a65, v45
	v_pk_fma_f32 v[66:67], v[124:125], s[40:41], v[32:33] op_sel:[0,0,1] op_sel_hi:[1,0,0]
	v_pk_fma_f32 v[72:73], v[124:125], s[40:41], v[32:33] op_sel:[0,0,1] op_sel_hi:[1,0,0] neg_lo:[0,0,1] neg_hi:[0,0,1]
	v_pk_mul_f32 v[44:45], v[122:123], s[72:73]
	v_mov_b32_e32 v32, v66
	v_mov_b32_e32 v33, v73
	v_pk_fma_f32 v[64:65], v[96:97], s[44:45], v[44:45]
	v_pk_fma_f32 v[40:41], v[96:97], s[44:45], v[44:45] neg_lo:[1,0,0] neg_hi:[1,0,0]
	v_pk_add_f32 v[32:33], v[48:49], v[32:33]
	v_mov_b32_e32 v40, v64
	v_pk_mul_f32 v[42:43], v[120:121], s[52:53]
	v_pk_add_f32 v[32:33], v[40:41], v[32:33]
	v_pk_fma_f32 v[62:63], v[98:99], s[28:29], v[42:43]
	v_pk_fma_f32 v[40:41], v[98:99], s[28:29], v[42:43] neg_lo:[1,0,0] neg_hi:[1,0,0]
	v_pk_mul_f32 v[140:141], v[112:113], s[58:59]
	v_mov_b32_e32 v40, v62
	v_pk_add_f32 v[32:33], v[40:41], v[32:33]
	v_pk_mul_f32 v[40:41], v[118:119], s[68:69]
	s_mov_b32 s69, 0x3f7ee86f
	v_pk_fma_f32 v[58:59], v[100:101], s[34:35], v[40:41]
	v_pk_fma_f32 v[50:51], v[100:101], s[34:35], v[40:41] neg_lo:[1,0,0] neg_hi:[1,0,0]
	s_mov_b32 s40, s69
	v_mov_b32_e32 v50, v58
	v_pk_add_f32 v[50:51], v[50:51], v[32:33]
	v_pk_mul_f32 v[32:33], v[116:117], s[54:55]
	s_mov_b32 s68, s41
	v_pk_fma_f32 v[56:57], v[102:103], s[18:19], v[32:33]
	v_pk_fma_f32 v[52:53], v[102:103], s[18:19], v[32:33] neg_lo:[1,0,0] neg_hi:[1,0,0]
	v_pk_mul_f32 v[60:61], v[114:115], s[40:41]
	v_mov_b32_e32 v52, v56
	v_pk_add_f32 v[50:51], v[52:53], v[50:51]
	v_pk_fma_f32 v[54:55], v[104:105], s[68:69], v[60:61]
	v_pk_fma_f32 v[52:53], v[104:105], s[68:69], v[60:61] neg_lo:[1,0,0] neg_hi:[1,0,0]
	v_pk_fma_f32 v[148:149], v[106:107], s[24:25], v[140:141] neg_lo:[1,0,0] neg_hi:[1,0,0]
	v_mov_b32_e32 v52, v54
	v_pk_add_f32 v[50:51], v[52:53], v[50:51]
	v_pk_fma_f32 v[52:53], v[106:107], s[24:25], v[140:141]
	s_mov_b32 s72, s37
	v_mov_b32_e32 v148, v52
	v_pk_add_f32 v[144:145], v[148:149], v[50:51]
	v_pk_mul_f32 v[148:149], v[110:111], s[62:63]
	s_mov_b32 s60, s61
	v_pk_fma_f32 v[76:77], v[108:109], s[36:37], v[148:149]
	v_pk_fma_f32 v[50:51], v[108:109], s[36:37], v[148:149] neg_lo:[1,0,0] neg_hi:[1,0,0]
	v_pk_mul_f32 v[174:175], v[122:123], s[70:71]
	v_mov_b32_e32 v50, v76
	v_pk_add_f32 v[50:51], v[50:51], v[144:145]
	ds_write2_b64 v71, v[152:153], v[50:51] offset0:4 offset1:5
	v_pk_mul_f32 v[50:51], v[126:127], s[72:73] op_sel_hi:[1,0]
	v_pk_fma_f32 v[190:191], v[96:97], s[46:47], v[174:175]
	v_pk_fma_f32 v[144:145], v[124:125], s[60:61], v[50:51] op_sel:[0,0,1] op_sel_hi:[1,0,0]
	v_pk_fma_f32 v[50:51], v[124:125], s[60:61], v[50:51] op_sel:[0,0,1] op_sel_hi:[1,0,0] neg_lo:[0,0,1] neg_hi:[0,0,1]
	v_mov_b32_e32 v152, v144
	v_mov_b32_e32 v153, v51
	v_pk_fma_f32 v[180:181], v[96:97], s[46:47], v[174:175] neg_lo:[1,0,0] neg_hi:[1,0,0]
	v_pk_add_f32 v[152:153], v[48:49], v[152:153]
	v_mov_b32_e32 v180, v190
	v_pk_add_f32 v[152:153], v[180:181], v[152:153]
	v_pk_mul_f32 v[180:181], v[120:121], s[58:59]
	v_pk_mul_f32 v[164:165], v[164:165], s[0:1]
	v_pk_fma_f32 v[202:203], v[98:99], s[24:25], v[180:181]
	v_pk_fma_f32 v[194:195], v[98:99], s[24:25], v[180:181] neg_lo:[1,0,0] neg_hi:[1,0,0]
	v_pk_add_f32 v[162:163], v[162:163], v[164:165] neg_lo:[0,1] neg_hi:[0,1]
	v_mov_b32_e32 v194, v202
	v_pk_add_f32 v[152:153], v[194:195], v[152:153]
	v_pk_mul_f32 v[194:195], v[118:119], s[42:43]
	v_mov_b32_e32 v161, v163
	v_pk_fma_f32 v[210:211], v[100:101], s[0:1], v[194:195]
	v_pk_fma_f32 v[206:207], v[100:101], s[0:1], v[194:195] neg_lo:[1,0,0] neg_hi:[1,0,0]
	v_pk_mul_f32 v[162:163], v[96:97], s[16:17]
	v_mov_b32_e32 v206, v210
	v_pk_add_f32 v[152:153], v[206:207], v[152:153]
	v_pk_mul_f32 v[206:207], v[116:117], s[40:41]
	v_pk_add_f32 v[162:163], v[166:167], v[162:163] neg_lo:[0,1] neg_hi:[0,1]
	v_pk_fma_f32 v[146:147], v[102:103], s[68:69], v[206:207]
	v_pk_fma_f32 v[216:217], v[102:103], s[68:69], v[206:207] neg_lo:[1,0,0] neg_hi:[1,0,0]
	v_mov_b32_e32 v169, v163
	v_pk_mul_f32 v[162:163], v[98:99], s[6:7]
	v_mov_b32_e32 v216, v146
	v_pk_add_f32 v[162:163], v[170:171], v[162:163] neg_lo:[0,1] neg_hi:[0,1]
	v_pk_add_f32 v[152:153], v[216:217], v[152:153]
	v_pk_mul_f32 v[216:217], v[114:115], s[64:65]
	v_mov_b32_e32 v173, v163
	v_pk_mul_f32 v[162:163], v[100:101], s[26:27]
	v_pk_fma_f32 v[154:155], v[104:105], s[30:31], v[216:217]
	v_pk_fma_f32 v[150:151], v[104:105], s[30:31], v[216:217] neg_lo:[1,0,0] neg_hi:[1,0,0]
	v_pk_add_f32 v[162:163], v[178:179], v[162:163] neg_lo:[0,1] neg_hi:[0,1]
	v_mov_b32_e32 v150, v154
	v_pk_add_f32 v[160:161], v[48:49], v[160:161]
	v_mov_b32_e32 v183, v163
	v_pk_mul_f32 v[162:163], v[102:103], s[24:25]
	v_pk_add_f32 v[150:151], v[150:151], v[152:153]
	v_pk_mul_f32 v[152:153], v[112:113], s[54:55]
	v_pk_add_f32 v[160:161], v[168:169], v[160:161]
	v_pk_add_f32 v[162:163], v[188:189], v[162:163] neg_lo:[0,1] neg_hi:[0,1]
	v_pk_fma_f32 v[226:227], v[106:107], s[18:19], v[152:153]
	v_pk_fma_f32 v[158:159], v[106:107], s[18:19], v[152:153] neg_lo:[1,0,0] neg_hi:[1,0,0]
	v_pk_add_f32 v[160:161], v[172:173], v[160:161]
	v_mov_b32_e32 v187, v163
	v_pk_mul_f32 v[162:163], v[104:105], s[18:19]
	v_mov_b32_e32 v158, v226
	v_pk_add_f32 v[160:161], v[182:183], v[160:161]
	v_pk_mul_f32 v[164:165], v[106:107], s[28:29]
	v_pk_add_f32 v[162:163], v[200:201], v[162:163] neg_lo:[0,1] neg_hi:[0,1]
	v_pk_add_f32 v[150:151], v[158:159], v[150:151]
	v_pk_mul_f32 v[158:159], v[110:111], s[38:39]
	v_pk_add_f32 v[160:161], v[186:187], v[160:161]
	v_pk_mul_f32 v[166:167], v[108:109], s[22:23]
	v_mov_b32_e32 v199, v163
	v_pk_add_f32 v[162:163], v[214:215], v[164:165] neg_lo:[0,1] neg_hi:[0,1]
	v_pk_fma_f32 v[234:235], v[108:109], s[16:17], v[158:159]
	v_pk_fma_f32 v[230:231], v[108:109], s[16:17], v[158:159] neg_lo:[1,0,0] neg_hi:[1,0,0]
	v_pk_add_f32 v[160:161], v[198:199], v[160:161]
	v_mov_b32_e32 v219, v163
	v_pk_add_f32 v[162:163], v[222:223], v[166:167] neg_lo:[0,1] neg_hi:[0,1]
	v_mov_b32_e32 v230, v234
	v_pk_add_f32 v[160:161], v[218:219], v[160:161]
	v_mov_b32_e32 v225, v163
	v_pk_add_f32 v[150:151], v[230:231], v[150:151]
	v_pk_add_f32 v[160:161], v[224:225], v[160:161]
	s_mov_b32 s58, s55
	v_pk_mul_f32 v[126:127], v[126:127], s[54:55] op_sel_hi:[1,0]
	ds_write2_b64 v71, v[150:151], v[160:161] offset0:6 offset1:7
	v_pk_fma_f32 v[150:151], v[124:125], s[58:59], v[126:127] op_sel:[0,0,1] op_sel_hi:[1,0,0]
	v_pk_fma_f32 v[124:125], v[124:125], s[58:59], v[126:127] op_sel:[0,0,1] op_sel_hi:[1,0,0] neg_lo:[0,0,1] neg_hi:[0,0,1]
	v_pk_mul_f32 v[122:123], v[122:123], s[66:67]
	v_mov_b32_e32 v126, v150
	v_mov_b32_e32 v127, v125
	v_pk_fma_f32 v[160:161], v[96:97], s[48:49], v[122:123]
	v_pk_fma_f32 v[162:163], v[96:97], s[48:49], v[122:123] neg_lo:[1,0,0] neg_hi:[1,0,0]
	v_pk_add_f32 v[126:127], v[48:49], v[126:127]
	v_mov_b32_e32 v162, v160
	v_pk_mul_f32 v[120:121], v[120:121], s[42:43]
	v_pk_add_f32 v[126:127], v[162:163], v[126:127]
	v_pk_fma_f32 v[162:163], v[98:99], s[0:1], v[120:121]
	v_pk_fma_f32 v[164:165], v[98:99], s[0:1], v[120:121] neg_lo:[1,0,0] neg_hi:[1,0,0]
	v_pk_mul_f32 v[118:119], v[118:119], s[52:53]
	v_mov_b32_e32 v164, v162
	v_pk_add_f32 v[126:127], v[164:165], v[126:127]
	v_pk_fma_f32 v[164:165], v[100:101], s[28:29], v[118:119]
	v_pk_fma_f32 v[166:167], v[100:101], s[28:29], v[118:119] neg_lo:[1,0,0] neg_hi:[1,0,0]
	v_pk_mul_f32 v[116:117], v[116:117], s[62:63]
	v_mov_b32_e32 v166, v164
	v_pk_add_f32 v[126:127], v[166:167], v[126:127]
	v_pk_fma_f32 v[166:167], v[102:103], s[36:37], v[116:117]
	v_pk_fma_f32 v[168:169], v[102:103], s[36:37], v[116:117] neg_lo:[1,0,0] neg_hi:[1,0,0]
	v_mov_b32_e32 v125, v151
	v_pk_fma_f32 v[122:123], v[96:97], s[48:49], v[122:123] neg_lo:[0,0,1] neg_hi:[0,0,1]
	v_mov_b32_e32 v168, v166
	v_pk_mul_f32 v[114:115], v[114:115], s[38:39]
	v_pk_add_f32 v[124:125], v[48:49], v[124:125]
	v_mov_b32_e32 v123, v161
	v_pk_fma_f32 v[120:121], v[98:99], s[0:1], v[120:121] neg_lo:[0,0,1] neg_hi:[0,0,1]
	v_pk_add_f32 v[126:127], v[168:169], v[126:127]
	v_pk_fma_f32 v[168:169], v[104:105], s[16:17], v[114:115]
	v_pk_fma_f32 v[170:171], v[104:105], s[16:17], v[114:115] neg_lo:[1,0,0] neg_hi:[1,0,0]
	v_pk_add_f32 v[122:123], v[122:123], v[124:125]
	v_mov_b32_e32 v121, v163
	v_pk_fma_f32 v[118:119], v[100:101], s[28:29], v[118:119] neg_lo:[0,0,1] neg_hi:[0,0,1]
	v_mov_b32_e32 v170, v168
	v_pk_mul_f32 v[112:113], v[112:113], s[50:51]
	v_pk_add_f32 v[120:121], v[120:121], v[122:123]
	v_mov_b32_e32 v119, v165
	v_pk_fma_f32 v[116:117], v[102:103], s[36:37], v[116:117] neg_lo:[0,0,1] neg_hi:[0,0,1]
	v_pk_add_f32 v[126:127], v[170:171], v[126:127]
	v_pk_fma_f32 v[170:171], v[106:107], s[22:23], v[112:113]
	v_pk_fma_f32 v[172:173], v[106:107], s[22:23], v[112:113] neg_lo:[1,0,0] neg_hi:[1,0,0]
	v_pk_add_f32 v[118:119], v[118:119], v[120:121]
	;; [unrolled: 11-line block ×3, first 2 shown]
	v_mov_b32_e32 v113, v171
	v_pk_fma_f32 v[110:111], v[108:109], s[68:69], v[110:111] neg_lo:[0,0,1] neg_hi:[0,0,1]
	v_mov_b32_e32 v178, v172
	v_pk_add_f32 v[112:113], v[112:113], v[114:115]
	v_mov_b32_e32 v111, v173
	v_pk_add_f32 v[126:127], v[178:179], v[126:127]
	v_pk_add_f32 v[110:111], v[110:111], v[112:113]
	ds_write2_b64 v71, v[126:127], v[110:111] offset0:8 offset1:9
	v_mov_b32_e32 v51, v145
	v_pk_fma_f32 v[110:111], v[96:97], s[46:47], v[174:175] neg_lo:[0,0,1] neg_hi:[0,0,1]
	v_pk_add_f32 v[50:51], v[48:49], v[50:51]
	v_mov_b32_e32 v111, v191
	v_pk_add_f32 v[50:51], v[110:111], v[50:51]
	v_pk_fma_f32 v[110:111], v[98:99], s[24:25], v[180:181] neg_lo:[0,0,1] neg_hi:[0,0,1]
	v_mov_b32_e32 v73, v67
	v_mov_b32_e32 v111, v203
	v_pk_add_f32 v[50:51], v[110:111], v[50:51]
	v_pk_fma_f32 v[110:111], v[100:101], s[0:1], v[194:195] neg_lo:[0,0,1] neg_hi:[0,0,1]
	v_pk_fma_f32 v[44:45], v[96:97], s[44:45], v[44:45] neg_lo:[0,0,1] neg_hi:[0,0,1]
	v_mov_b32_e32 v111, v211
	v_pk_add_f32 v[50:51], v[110:111], v[50:51]
	v_pk_fma_f32 v[110:111], v[102:103], s[68:69], v[206:207] neg_lo:[0,0,1] neg_hi:[0,0,1]
	v_mov_b32_e32 v45, v65
	v_mov_b32_e32 v111, v147
	v_pk_add_f32 v[50:51], v[110:111], v[50:51]
	v_pk_fma_f32 v[110:111], v[104:105], s[30:31], v[216:217] neg_lo:[0,0,1] neg_hi:[0,0,1]
	v_pk_fma_f32 v[42:43], v[98:99], s[28:29], v[42:43] neg_lo:[0,0,1] neg_hi:[0,0,1]
	;; [unrolled: 8-line block ×3, first 2 shown]
	v_mov_b32_e32 v111, v235
	v_pk_add_f32 v[50:51], v[110:111], v[50:51]
	ds_write2_b64 v71, v[156:157], v[50:51] offset0:10 offset1:11
	v_pk_add_f32 v[50:51], v[48:49], v[72:73]
	v_mov_b32_e32 v41, v59
	v_pk_add_f32 v[44:45], v[44:45], v[50:51]
	v_pk_fma_f32 v[32:33], v[102:103], s[18:19], v[32:33] neg_lo:[0,0,1] neg_hi:[0,0,1]
	v_pk_add_f32 v[42:43], v[42:43], v[44:45]
	v_mov_b32_e32 v33, v57
	v_pk_add_f32 v[40:41], v[40:41], v[42:43]
	v_mov_b32_e32 v229, v135
	v_pk_add_f32 v[32:33], v[32:33], v[40:41]
	v_pk_fma_f32 v[40:41], v[104:105], s[68:69], v[60:61] neg_lo:[0,0,1] neg_hi:[0,0,1]
	v_pk_fma_f32 v[42:43], v[96:97], s[18:19], v[232:233] neg_lo:[0,0,1] neg_hi:[0,0,1]
	v_mov_b32_e32 v41, v55
	v_pk_add_f32 v[32:33], v[40:41], v[32:33]
	v_pk_fma_f32 v[40:41], v[106:107], s[24:25], v[140:141] neg_lo:[0,0,1] neg_hi:[0,0,1]
	v_mov_b32_e32 v43, v133
	v_mov_b32_e32 v41, v53
	v_pk_add_f32 v[32:33], v[40:41], v[32:33]
	v_pk_fma_f32 v[40:41], v[108:109], s[36:37], v[148:149] neg_lo:[0,0,1] neg_hi:[0,0,1]
	v_mov_b32_e32 v177, v131
	v_mov_b32_e32 v41, v77
	v_pk_add_f32 v[32:33], v[40:41], v[32:33]
	v_pk_add_f32 v[40:41], v[48:49], v[228:229]
	v_mov_b32_e32 v131, v35
	v_pk_add_f32 v[40:41], v[42:43], v[40:41]
	v_pk_fma_f32 v[42:43], v[98:99], s[46:47], v[236:237] neg_lo:[0,0,1] neg_hi:[0,0,1]
	v_mov_b32_e32 v35, v239
	v_mov_b32_e32 v43, v129
	v_pk_add_f32 v[40:41], v[42:43], v[40:41]
	v_pk_fma_f32 v[42:43], v[100:101], s[48:49], v[240:241] neg_lo:[0,0,1] neg_hi:[0,0,1]
	v_accvgpr_read_b32 v180, a1
	v_mov_b32_e32 v43, v69
	v_pk_add_f32 v[40:41], v[42:43], v[40:41]
	v_pk_fma_f32 v[42:43], v[102:103], s[34:35], v[244:245] neg_lo:[0,0,1] neg_hi:[0,0,1]
	s_nop 0
	v_mov_b32_e32 v43, v243
	v_pk_add_f32 v[40:41], v[42:43], v[40:41]
	v_pk_fma_f32 v[42:43], v[104:105], s[0:1], v[248:249] neg_lo:[0,0,1] neg_hi:[0,0,1]
	s_nop 0
	;; [unrolled: 4-line block ×4, first 2 shown]
	v_mov_b32_e32 v43, v255
	v_pk_add_f32 v[40:41], v[42:43], v[40:41]
	ds_write2_b64 v71, v[32:33], v[40:41] offset0:12 offset1:13
	v_pk_fma_f32 v[40:41], v[96:97], s[36:37], v[184:185] neg_lo:[0,0,1] neg_hi:[0,0,1]
	v_pk_add_f32 v[32:33], v[48:49], v[176:177]
	v_accvgpr_read_b32 v41, a53
	v_pk_add_f32 v[32:33], v[40:41], v[32:33]
	v_pk_fma_f32 v[40:41], v[98:99], s[56:57], v[192:193] neg_lo:[0,0,1] neg_hi:[0,0,1]
	v_accvgpr_read_b32 v43, a35
	v_accvgpr_read_b32 v41, a55
	v_pk_add_f32 v[32:33], v[40:41], v[32:33]
	v_pk_fma_f32 v[40:41], v[100:101], s[46:47], v[196:197] neg_lo:[0,0,1] neg_hi:[0,0,1]
	v_accvgpr_read_b32 v42, a34
	v_accvgpr_read_b32 v41, a57
	v_pk_add_f32 v[32:33], v[40:41], v[32:33]
	v_pk_fma_f32 v[40:41], v[102:103], s[28:29], v[204:205] neg_lo:[0,0,1] neg_hi:[0,0,1]
	v_pk_fma_f32 v[42:43], v[96:97], s[6:7], v[42:43] neg_lo:[0,0,1] neg_hi:[0,0,1]
	v_accvgpr_read_b32 v41, a59
	v_pk_add_f32 v[32:33], v[40:41], v[32:33]
	v_pk_fma_f32 v[40:41], v[104:105], s[24:25], v[208:209] neg_lo:[0,0,1] neg_hi:[0,0,1]
	v_accvgpr_read_b32 v43, a31
	v_accvgpr_read_b32 v41, a61
	v_pk_add_f32 v[32:33], v[40:41], v[32:33]
	v_pk_fma_f32 v[40:41], v[106:107], s[6:7], v[212:213] neg_lo:[0,0,1] neg_hi:[0,0,1]
	s_nop 0
	v_accvgpr_read_b32 v41, a63
	v_pk_add_f32 v[32:33], v[40:41], v[32:33]
	v_pk_fma_f32 v[40:41], v[108:109], s[0:1], v[220:221] neg_lo:[0,0,1] neg_hi:[0,0,1]
	s_nop 0
	v_accvgpr_read_b32 v41, a65
	v_pk_add_f32 v[32:33], v[40:41], v[32:33]
	v_pk_add_f32 v[40:41], v[48:49], v[130:131]
	s_nop 0
	v_pk_add_f32 v[40:41], v[42:43], v[40:41]
	v_accvgpr_read_b32 v43, a39
	v_accvgpr_read_b32 v42, a38
	v_pk_fma_f32 v[42:43], v[98:99], s[36:37], v[42:43] neg_lo:[0,0,1] neg_hi:[0,0,1]
	s_nop 0
	v_accvgpr_read_b32 v43, a33
	v_pk_add_f32 v[40:41], v[42:43], v[40:41]
	v_accvgpr_read_b32 v43, a41
	v_accvgpr_read_b32 v42, a40
	v_pk_fma_f32 v[42:43], v[100:101], s[18:19], v[42:43] neg_lo:[0,0,1] neg_hi:[0,0,1]
	s_nop 0
	v_accvgpr_read_b32 v43, a37
	;; [unrolled: 6-line block ×3, first 2 shown]
	v_pk_add_f32 v[40:41], v[42:43], v[40:41]
	v_pk_fma_f32 v[42:43], v[104:105], s[46:47], v[142:143] neg_lo:[0,0,1] neg_hi:[0,0,1]
	s_nop 0
	v_accvgpr_read_b32 v43, a47
	v_pk_add_f32 v[40:41], v[42:43], v[40:41]
	v_pk_fma_f32 v[42:43], v[106:107], s[16:17], v[138:139] neg_lo:[0,0,1] neg_hi:[0,0,1]
	s_nop 0
	v_accvgpr_read_b32 v43, a49
	;; [unrolled: 4-line block ×3, first 2 shown]
	v_pk_add_f32 v[40:41], v[42:43], v[40:41]
	ds_write2_b64 v71, v[32:33], v[40:41] offset0:14 offset1:15
	v_pk_add_f32 v[32:33], v[48:49], v[34:35]
	v_accvgpr_read_b32 v35, a5
	v_accvgpr_read_b32 v34, a4
	v_pk_fma_f32 v[34:35], v[96:97], s[30:31], v[34:35] neg_lo:[0,0,1] neg_hi:[0,0,1]
	s_nop 0
	v_accvgpr_read_b32 v35, a3
	v_pk_add_f32 v[32:33], v[34:35], v[32:33]
	v_accvgpr_read_b32 v35, a11
	v_accvgpr_read_b32 v34, a10
	v_pk_fma_f32 v[34:35], v[98:99], s[34:35], v[34:35] neg_lo:[0,0,1] neg_hi:[0,0,1]
	s_nop 0
	v_accvgpr_read_b32 v35, a7
	;; [unrolled: 6-line block ×7, first 2 shown]
	v_pk_add_f32 v[32:33], v[34:35], v[32:33]
	ds_write_b64 v71, v[32:33] offset:128
.LBB0_17:
	s_or_b64 exec, exec, s[20:21]
	v_add_u32_e32 v40, 0xa00, v70
	s_waitcnt lgkmcnt(0)
	s_barrier
	ds_read2_b64 v[40:43], v40 offset0:54 offset1:241
	v_add_u32_e32 v44, 0x1600, v70
	ds_read2_b64 v[44:47], v44 offset0:44 offset1:231
	v_add_u32_e32 v48, 0x2200, v70
	;; [unrolled: 2-line block ×3, first 2 shown]
	ds_read2_b64 v[52:55], v52 offset0:24 offset1:211
	s_waitcnt lgkmcnt(3)
	v_pk_mul_f32 v[14:15], v[14:15], v[40:41]
	ds_read2_b64 v[32:35], v70 offset1:187
	v_pk_fma_f32 v[56:57], v[88:89], v[40:41], v[14:15] op_sel:[0,0,1] op_sel_hi:[1,1,0]
	v_pk_fma_f32 v[14:15], v[88:89], v[40:41], v[14:15] op_sel:[0,0,1] op_sel_hi:[1,1,0] neg_lo:[0,0,1] neg_hi:[0,0,1]
	s_waitcnt lgkmcnt(3)
	v_pk_mul_f32 v[10:11], v[10:11], v[44:45]
	v_mov_b32_e32 v57, v15
	v_pk_fma_f32 v[14:15], v[90:91], v[44:45], v[10:11] op_sel:[0,0,1] op_sel_hi:[1,1,0]
	v_pk_fma_f32 v[10:11], v[90:91], v[44:45], v[10:11] op_sel:[0,0,1] op_sel_hi:[1,1,0] neg_lo:[0,0,1] neg_hi:[0,0,1]
	s_waitcnt lgkmcnt(2)
	v_pk_mul_f32 v[6:7], v[6:7], v[48:49]
	v_mov_b32_e32 v15, v11
	;; [unrolled: 5-line block ×3, first 2 shown]
	v_pk_fma_f32 v[6:7], v[94:95], v[52:53], v[2:3] op_sel:[0,0,1] op_sel_hi:[1,1,0]
	v_pk_fma_f32 v[2:3], v[94:95], v[52:53], v[2:3] op_sel:[0,0,1] op_sel_hi:[1,1,0] neg_lo:[0,0,1] neg_hi:[0,0,1]
	s_mov_b32 s6, 0x3f737871
	v_mov_b32_e32 v7, v3
	v_pk_add_f32 v[2:3], v[14:15], v[10:11]
	v_pk_add_f32 v[40:41], v[56:57], v[6:7] neg_lo:[0,1] neg_hi:[0,1]
	s_waitcnt lgkmcnt(0)
	v_pk_fma_f32 v[2:3], v[2:3], 0.5, v[32:33] op_sel_hi:[1,0,1] neg_lo:[1,0,0] neg_hi:[1,0,0]
	v_pk_add_f32 v[48:49], v[56:57], v[14:15] neg_lo:[0,1] neg_hi:[0,1]
	v_pk_add_f32 v[52:53], v[6:7], v[10:11] neg_lo:[0,1] neg_hi:[0,1]
	;; [unrolled: 1-line block ×3, first 2 shown]
	s_mov_b32 s0, 0x3f167918
	v_pk_add_f32 v[48:49], v[48:49], v[52:53]
	v_pk_fma_f32 v[52:53], v[40:41], s[6:7], v[2:3] op_sel:[1,0,0] op_sel_hi:[0,0,1]
	v_pk_fma_f32 v[2:3], v[40:41], s[6:7], v[2:3] op_sel:[1,0,0] op_sel_hi:[0,0,1] neg_lo:[1,0,0] neg_hi:[1,0,0]
	v_pk_fma_f32 v[2:3], v[44:45], s[0:1], v[2:3] op_sel:[1,0,0] op_sel_hi:[0,0,1] neg_lo:[1,0,0] neg_hi:[1,0,0]
	v_pk_fma_f32 v[52:53], v[44:45], s[0:1], v[52:53] op_sel:[1,0,0] op_sel_hi:[0,0,1]
	s_mov_b32 s16, 0x3e9e377a
	v_mov_b32_e32 v58, v52
	v_mov_b32_e32 v59, v3
	;; [unrolled: 1-line block ×3, first 2 shown]
	v_pk_fma_f32 v[58:59], v[48:49], s[16:17], v[58:59] op_sel_hi:[1,0,1]
	v_pk_fma_f32 v[48:49], v[48:49], s[16:17], v[2:3] op_sel_hi:[1,0,1]
	v_pk_add_f32 v[2:3], v[56:57], v[6:7]
	v_pk_add_f32 v[52:53], v[14:15], v[56:57] neg_lo:[0,1] neg_hi:[0,1]
	v_pk_fma_f32 v[2:3], v[2:3], 0.5, v[32:33] op_sel_hi:[1,0,1] neg_lo:[1,0,0] neg_hi:[1,0,0]
	v_pk_add_f32 v[60:61], v[10:11], v[6:7] neg_lo:[0,1] neg_hi:[0,1]
	v_pk_mul_f32 v[8:9], v[8:9], v[42:43]
	v_pk_add_f32 v[52:53], v[52:53], v[60:61]
	v_pk_fma_f32 v[60:61], v[44:45], s[6:7], v[2:3] op_sel:[1,0,0] op_sel_hi:[0,0,1] neg_lo:[1,0,0] neg_hi:[1,0,0]
	v_pk_fma_f32 v[2:3], v[44:45], s[6:7], v[2:3] op_sel:[1,0,0] op_sel_hi:[0,0,1]
	v_pk_fma_f32 v[2:3], v[40:41], s[0:1], v[2:3] op_sel:[1,0,0] op_sel_hi:[0,0,1] neg_lo:[1,0,0] neg_hi:[1,0,0]
	v_pk_fma_f32 v[40:41], v[40:41], s[0:1], v[60:61] op_sel:[1,0,0] op_sel_hi:[0,0,1]
	v_mov_b32_e32 v45, v3
	v_mov_b32_e32 v3, v41
	;; [unrolled: 1-line block ×3, first 2 shown]
	v_pk_fma_f32 v[40:41], v[52:53], s[16:17], v[2:3] op_sel_hi:[1,0,1]
	v_pk_mul_f32 v[2:3], v[12:13], v[34:35]
	v_pk_mul_f32 v[4:5], v[4:5], v[46:47]
	;; [unrolled: 1-line block ×3, first 2 shown]
	v_pk_fma_f32 v[12:13], v[78:79], v[34:35], v[2:3] op_sel:[0,0,1] op_sel_hi:[1,1,0]
	v_pk_fma_f32 v[2:3], v[78:79], v[34:35], v[2:3] op_sel:[0,0,1] op_sel_hi:[1,1,0] neg_lo:[0,0,1] neg_hi:[0,0,1]
	v_pk_fma_f32 v[34:35], v[80:81], v[42:43], v[8:9] op_sel:[0,0,1] op_sel_hi:[1,1,0]
	v_pk_fma_f32 v[8:9], v[80:81], v[42:43], v[8:9] op_sel:[0,0,1] op_sel_hi:[1,1,0] neg_lo:[0,0,1] neg_hi:[0,0,1]
	;; [unrolled: 2-line block ×4, first 2 shown]
	v_pk_mul_f32 v[50:51], v[74:75], v[54:55]
	v_pk_fma_f32 v[44:45], v[52:53], s[16:17], v[44:45] op_sel_hi:[1,0,1]
	v_pk_fma_f32 v[52:53], v[86:87], v[54:55], v[50:51] op_sel:[0,0,1] op_sel_hi:[1,1,0]
	v_mov_b32_e32 v64, v34
	v_mov_b32_e32 v65, v52
	;; [unrolled: 1-line block ×4, first 2 shown]
	v_pk_add_f32 v[68:69], v[64:65], v[66:67] neg_lo:[0,1] neg_hi:[0,1]
	v_mov_b32_e32 v43, v5
	v_mov_b32_e32 v47, v1
	v_pk_fma_f32 v[50:51], v[86:87], v[54:55], v[50:51] op_sel:[0,0,1] op_sel_hi:[1,1,0] neg_lo:[0,0,1] neg_hi:[0,0,1]
	v_mov_b32_e32 v0, v69
	v_mov_b32_e32 v35, v9
	;; [unrolled: 1-line block ×3, first 2 shown]
	v_pk_add_f32 v[54:55], v[42:43], v[46:47]
	v_pk_add_f32 v[62:63], v[42:43], v[46:47] neg_lo:[0,1] neg_hi:[0,1]
	v_pk_add_f32 v[68:69], v[68:69], v[0:1]
	v_fma_f32 v4, -0.5, v54, v12
	v_pk_add_f32 v[60:61], v[34:35], v[52:53] neg_lo:[0,1] neg_hi:[0,1]
	v_mov_b32_e32 v69, v63
	s_mov_b32 s17, s0
	v_fmamk_f32 v2, v61, 0xbf737871, v4
	v_pk_mul_f32 v[68:69], v[68:69], s[16:17]
	v_fmac_f32_e32 v4, 0x3f737871, v61
	v_sub_f32_e32 v0, v2, v69
	v_add_f32_e32 v2, v68, v0
	v_add_f32_e32 v0, v69, v4
	v_pk_add_f32 v[64:65], v[66:67], v[64:65] neg_lo:[0,1] neg_hi:[0,1]
	v_add_f32_e32 v4, v68, v0
	v_mov_b32_e32 v0, v65
	v_pk_add_f32 v[68:69], v[34:35], v[52:53]
	v_mov_b32_e32 v50, v12
	v_pk_add_f32 v[64:65], v[64:65], v[0:1]
	v_fmac_f32_e32 v50, -0.5, v68
	v_mov_b32_e32 v65, v61
	v_mov_b32_e32 v13, v3
	v_fmamk_f32 v8, v63, 0x3f737871, v50
	v_pk_mul_f32 v[64:65], v[64:65], s[16:17]
	v_fmac_f32_e32 v50, 0xbf737871, v63
	v_sub_f32_e32 v0, v8, v65
	v_pk_add_f32 v[12:13], v[12:13], v[34:35]
	v_add_f32_e32 v8, v64, v0
	v_add_f32_e32 v0, v65, v50
	v_pk_add_f32 v[12:13], v[12:13], v[42:43]
	v_add_f32_e32 v54, v64, v0
	v_pk_add_f32 v[12:13], v[12:13], v[46:47]
	v_mov_b32_e32 v50, v9
	v_mov_b32_e32 v0, v5
	v_pk_add_f32 v[42:43], v[12:13], v[52:53]
	v_pk_add_f32 v[12:13], v[50:51], v[0:1] neg_lo:[0,1] neg_hi:[0,1]
	v_fma_f32 v35, -0.5, v55, v3
	v_mov_b32_e32 v34, v13
	v_pk_add_f32 v[12:13], v[12:13], v[34:35]
	v_fmamk_f32 v46, v60, 0x3f737871, v35
	v_mov_b32_e32 v13, v62
	v_pk_mul_f32 v[12:13], v[12:13], s[16:17]
	v_pk_add_f32 v[0:1], v[0:1], v[50:51] neg_lo:[0,1] neg_hi:[0,1]
	v_add_f32_e32 v5, v13, v46
	v_mov_b32_e32 v46, v1
	v_fmac_f32_e32 v35, 0xbf737871, v60
	v_pk_add_f32 v[0:1], v[0:1], v[46:47]
	v_add_f32_e32 v34, v12, v5
	v_sub_f32_e32 v5, v35, v13
	v_fmac_f32_e32 v3, -0.5, v69
	v_mov_b32_e32 v1, v60
	v_pk_add_f32 v[32:33], v[32:33], v[56:57]
	v_add_f32_e32 v12, v12, v5
	v_fmamk_f32 v5, v62, 0xbf737871, v3
	v_pk_mul_f32 v[0:1], v[0:1], s[16:17]
	v_pk_add_f32 v[14:15], v[32:33], v[14:15]
	s_mov_b32 s18, 0x3f4f1bbd
	v_add_f32_e32 v5, v1, v5
	v_pk_add_f32 v[10:11], v[14:15], v[10:11]
	s_mov_b32 s1, s18
	v_add_f32_e32 v46, v0, v5
	v_fmac_f32_e32 v3, 0x3f737871, v62
	v_pk_add_f32 v[50:51], v[10:11], v[6:7]
	s_mov_b32 s19, s0
	v_pk_mul_f32 v[6:7], v[34:35], s[0:1] op_sel_hi:[0,1]
	s_mov_b32 s7, s16
	v_sub_f32_e32 v1, v3, v1
	v_pk_fma_f32 v[14:15], v[2:3], s[18:19], v[6:7] neg_lo:[0,0,1] neg_hi:[0,0,1]
	v_pk_fma_f32 v[2:3], v[2:3], s[18:19], v[6:7] op_sel_hi:[0,1,1]
	s_mov_b32 s17, s6
	v_pk_mul_f32 v[6:7], v[46:47], s[6:7] op_sel_hi:[0,1]
	v_add_f32_e32 v0, v0, v1
	v_pk_fma_f32 v[32:33], v[8:9], s[16:17], v[6:7] neg_lo:[0,0,1] neg_hi:[0,0,1]
	v_pk_fma_f32 v[6:7], v[8:9], s[16:17], v[6:7] op_sel_hi:[0,1,1]
	s_mov_b32 s18, 0xbe9e377a
	s_mov_b32 s19, s6
	v_pk_mul_f32 v[0:1], v[0:1], s[6:7] op_sel_hi:[0,1]
	v_mov_b32_e32 v33, v7
	s_mov_b32 s6, 0xbf4f1bbd
	s_mov_b32 s7, s0
	v_pk_mul_f32 v[6:7], v[12:13], s[0:1] op_sel_hi:[0,1]
	v_mov_b32_e32 v15, v3
	v_pk_fma_f32 v[0:1], v[54:55], s[18:19], v[0:1] op_sel_hi:[0,1,1] neg_lo:[0,0,1] neg_hi:[0,0,1]
	v_pk_fma_f32 v[34:35], v[4:5], s[6:7], v[6:7] op_sel_hi:[0,1,1] neg_lo:[0,0,1] neg_hi:[0,0,1]
	v_pk_add_f32 v[2:3], v[48:49], v[14:15]
	v_pk_add_f32 v[8:9], v[40:41], v[32:33]
	;; [unrolled: 1-line block ×4, first 2 shown]
	v_pk_add_f32 v[6:7], v[50:51], v[42:43] neg_lo:[0,1] neg_hi:[0,1]
	v_pk_add_f32 v[12:13], v[48:49], v[14:15] neg_lo:[0,1] neg_hi:[0,1]
	v_pk_add_f32 v[14:15], v[40:41], v[32:33] neg_lo:[0,1] neg_hi:[0,1]
	v_pk_add_f32 v[32:33], v[44:45], v[0:1] neg_lo:[0,1] neg_hi:[0,1]
	v_pk_add_f32 v[34:35], v[58:59], v[34:35] neg_lo:[0,1] neg_hi:[0,1]
	v_pk_add_f32 v[0:1], v[50:51], v[42:43]
	s_barrier
	ds_write2_b64 v238, v[0:1], v[2:3] offset1:17
	ds_write2_b64 v238, v[8:9], v[10:11] offset0:34 offset1:51
	ds_write2_b64 v238, v[4:5], v[6:7] offset0:68 offset1:85
	ds_write2_b64 v238, v[12:13], v[14:15] offset0:102 offset1:119
	ds_write2_b64 v238, v[32:33], v[34:35] offset0:136 offset1:153
	s_waitcnt lgkmcnt(0)
	s_barrier
	s_and_saveexec_b64 s[0:1], s[2:3]
	s_cbranch_execz .LBB0_19
; %bb.18:
	v_add_u32_e32 v4, 0x800, v70
	ds_read2_b64 v[8:11], v4 offset0:84 offset1:254
	v_add_u32_e32 v4, 0x1400, v70
	v_add_u32_e32 v12, 0x1e00, v70
	;; [unrolled: 1-line block ×3, first 2 shown]
	ds_read2_b64 v[0:3], v70 offset1:170
	ds_read2_b64 v[4:7], v4 offset0:40 offset1:210
	ds_read2_b64 v[12:15], v12 offset0:60 offset1:230
	;; [unrolled: 1-line block ×3, first 2 shown]
	ds_read_b64 v[156:157], v70 offset:13600
.LBB0_19:
	s_or_b64 exec, exec, s[0:1]
	s_and_saveexec_b64 s[0:1], s[2:3]
	s_cbranch_execz .LBB0_21
; %bb.20:
	s_waitcnt lgkmcnt(0)
	v_pk_mul_f32 v[42:43], v[38:39], v[156:157] op_sel:[0,1]
	v_pk_mul_f32 v[46:47], v[36:37], v[34:35] op_sel:[0,1]
	v_pk_fma_f32 v[60:61], v[38:39], v[156:157], v[42:43] op_sel:[0,0,1] op_sel_hi:[1,1,0]
	v_pk_fma_f32 v[38:39], v[38:39], v[156:157], v[42:43] op_sel:[0,0,1] op_sel_hi:[1,0,0] neg_lo:[1,0,0] neg_hi:[1,0,0]
	v_pk_mul_f32 v[44:45], v[18:19], v[8:9] op_sel:[0,1]
	v_mov_b32_e32 v61, v39
	v_pk_fma_f32 v[38:39], v[36:37], v[34:35], v[46:47] op_sel:[0,0,1] op_sel_hi:[1,1,0]
	v_pk_fma_f32 v[34:35], v[36:37], v[34:35], v[46:47] op_sel:[0,0,1] op_sel_hi:[1,0,0] neg_lo:[1,0,0] neg_hi:[1,0,0]
	v_pk_mul_f32 v[50:51], v[30:31], v[32:33] op_sel:[0,1]
	v_mov_b32_e32 v39, v35
	;; [unrolled: 4-line block ×8, first 2 shown]
	v_pk_fma_f32 v[12:13], v[20:21], v[6:7], v[56:57] op_sel:[0,0,1] op_sel_hi:[1,1,0]
	v_pk_fma_f32 v[6:7], v[20:21], v[6:7], v[56:57] op_sel:[0,0,1] op_sel_hi:[1,0,0] neg_lo:[1,0,0] neg_hi:[1,0,0]
	s_mov_b32 s22, 0xbf0a6770
	v_mov_b32_e32 v13, v7
	v_pk_fma_f32 v[6:7], v[16:17], v[2:3], v[40:41] op_sel:[0,0,1] op_sel_hi:[1,1,0]
	v_pk_fma_f32 v[2:3], v[16:17], v[2:3], v[40:41] op_sel:[0,0,1] op_sel_hi:[1,0,0] neg_lo:[1,0,0] neg_hi:[1,0,0]
	v_pk_add_f32 v[20:21], v[34:35], v[38:39] neg_lo:[0,1] neg_hi:[0,1]
	v_mov_b32_e32 v7, v3
	v_pk_add_f32 v[2:3], v[6:7], v[60:61] neg_lo:[0,1] neg_hi:[0,1]
	v_pk_add_f32 v[16:17], v[60:61], v[6:7]
	s_mov_b32 s2, 0x3f575c64
	v_pk_mul_f32 v[40:41], v[2:3], s[22:23] op_sel_hi:[1,0]
	s_mov_b32 s30, 0xbf68dda4
	v_pk_add_f32 v[22:23], v[38:39], v[34:35]
	v_pk_fma_f32 v[42:43], v[16:17], s[2:3], v[40:41] op_sel:[0,0,1] op_sel_hi:[1,0,0]
	v_pk_fma_f32 v[40:41], v[16:17], s[2:3], v[40:41] op_sel:[0,0,1] op_sel_hi:[1,0,0] neg_lo:[0,0,1] neg_hi:[0,0,1]
	s_mov_b32 s6, 0x3ed4b147
	v_pk_mul_f32 v[46:47], v[20:21], s[30:31] op_sel_hi:[1,0]
	v_mov_b32_e32 v44, v42
	v_mov_b32_e32 v45, v41
	v_pk_fma_f32 v[48:49], v[22:23], s[6:7], v[46:47] op_sel:[0,0,1] op_sel_hi:[1,0,0]
	v_pk_fma_f32 v[46:47], v[22:23], s[6:7], v[46:47] op_sel:[0,0,1] op_sel_hi:[1,0,0] neg_lo:[0,0,1] neg_hi:[0,0,1]
	v_pk_add_f32 v[24:25], v[18:19], v[8:9] neg_lo:[0,1] neg_hi:[0,1]
	v_pk_add_f32 v[44:45], v[0:1], v[44:45]
	v_mov_b32_e32 v50, v48
	v_mov_b32_e32 v51, v47
	s_mov_b32 s20, 0xbf7d64f0
	v_pk_add_f32 v[26:27], v[8:9], v[18:19]
	v_pk_add_f32 v[44:45], v[50:51], v[44:45]
	s_mov_b32 s16, 0xbe11bafb
	v_pk_mul_f32 v[50:51], v[24:25], s[20:21] op_sel_hi:[1,0]
	v_pk_add_f32 v[6:7], v[0:1], v[6:7]
	v_pk_fma_f32 v[52:53], v[26:27], s[16:17], v[50:51] op_sel:[0,0,1] op_sel_hi:[1,0,0]
	v_pk_fma_f32 v[50:51], v[26:27], s[16:17], v[50:51] op_sel:[0,0,1] op_sel_hi:[1,0,0] neg_lo:[0,0,1] neg_hi:[0,0,1]
	v_pk_add_f32 v[6:7], v[34:35], v[6:7]
	v_pk_add_f32 v[28:29], v[14:15], v[10:11] neg_lo:[0,1] neg_hi:[0,1]
	v_mov_b32_e32 v54, v52
	v_mov_b32_e32 v55, v51
	s_mov_b32 s24, 0xbf4178ce
	v_pk_add_f32 v[6:7], v[18:19], v[6:7]
	v_pk_add_f32 v[30:31], v[10:11], v[14:15]
	;; [unrolled: 1-line block ×3, first 2 shown]
	s_mov_b32 s18, 0xbf27a4f4
	v_pk_mul_f32 v[54:55], v[28:29], s[24:25] op_sel_hi:[1,0]
	v_pk_add_f32 v[6:7], v[14:15], v[6:7]
	v_pk_fma_f32 v[56:57], v[30:31], s[18:19], v[54:55] op_sel:[0,0,1] op_sel_hi:[1,0,0]
	v_pk_fma_f32 v[54:55], v[30:31], s[18:19], v[54:55] op_sel:[0,0,1] op_sel_hi:[1,0,0] neg_lo:[0,0,1] neg_hi:[0,0,1]
	v_pk_add_f32 v[6:7], v[12:13], v[6:7]
	v_pk_add_f32 v[32:33], v[12:13], v[4:5] neg_lo:[0,1] neg_hi:[0,1]
	v_pk_add_f32 v[36:37], v[4:5], v[12:13]
	v_mov_b32_e32 v58, v56
	v_mov_b32_e32 v59, v55
	s_mov_b32 s28, 0xbe903f40
	v_pk_add_f32 v[4:5], v[4:5], v[6:7]
	v_pk_add_f32 v[44:45], v[58:59], v[44:45]
	s_mov_b32 s26, 0xbf75a155
	v_pk_mul_f32 v[58:59], v[32:33], s[28:29] op_sel_hi:[1,0]
	v_pk_add_f32 v[4:5], v[10:11], v[4:5]
	v_pk_fma_f32 v[62:63], v[36:37], s[26:27], v[58:59] op_sel:[0,0,1] op_sel_hi:[1,0,0]
	v_pk_fma_f32 v[58:59], v[36:37], s[26:27], v[58:59] op_sel:[0,0,1] op_sel_hi:[1,0,0] neg_lo:[0,0,1] neg_hi:[0,0,1]
	v_pk_add_f32 v[4:5], v[8:9], v[4:5]
	v_mov_b32_e32 v64, v62
	v_mov_b32_e32 v65, v59
	v_pk_add_f32 v[4:5], v[38:39], v[4:5]
	v_pk_add_f32 v[44:45], v[64:65], v[44:45]
	;; [unrolled: 1-line block ×3, first 2 shown]
	ds_write2_b64 v70, v[4:5], v[44:45] offset1:170
	v_pk_mul_f32 v[4:5], v[2:3], s[30:31] op_sel_hi:[1,0]
	v_pk_mul_f32 v[10:11], v[20:21], s[24:25] op_sel_hi:[1,0]
	v_pk_fma_f32 v[6:7], v[16:17], s[6:7], v[4:5] op_sel:[0,0,1] op_sel_hi:[1,0,0]
	v_pk_fma_f32 v[4:5], v[16:17], s[6:7], v[4:5] op_sel:[0,0,1] op_sel_hi:[1,0,0] neg_lo:[0,0,1] neg_hi:[0,0,1]
	v_mov_b32_e32 v8, v6
	v_mov_b32_e32 v9, v5
	v_pk_fma_f32 v[12:13], v[22:23], s[18:19], v[10:11] op_sel:[0,0,1] op_sel_hi:[1,0,0]
	v_pk_fma_f32 v[10:11], v[22:23], s[18:19], v[10:11] op_sel:[0,0,1] op_sel_hi:[1,0,0] neg_lo:[0,0,1] neg_hi:[0,0,1]
	v_pk_add_f32 v[8:9], v[0:1], v[8:9]
	v_mov_b32_e32 v14, v12
	v_mov_b32_e32 v15, v11
	s_mov_b32 s30, 0x3e903f40
	v_pk_add_f32 v[8:9], v[14:15], v[8:9]
	v_pk_mul_f32 v[14:15], v[24:25], s[30:31] op_sel_hi:[1,0]
	s_mov_b32 s34, 0x3f7d64f0
	v_pk_fma_f32 v[18:19], v[26:27], s[26:27], v[14:15] op_sel:[0,0,1] op_sel_hi:[1,0,0]
	v_pk_fma_f32 v[14:15], v[26:27], s[26:27], v[14:15] op_sel:[0,0,1] op_sel_hi:[1,0,0] neg_lo:[0,0,1] neg_hi:[0,0,1]
	v_mov_b32_e32 v34, v18
	v_mov_b32_e32 v35, v15
	v_pk_add_f32 v[8:9], v[34:35], v[8:9]
	v_pk_mul_f32 v[34:35], v[28:29], s[34:35] op_sel_hi:[1,0]
	s_mov_b32 s36, 0x3f0a6770
	v_pk_fma_f32 v[38:39], v[30:31], s[16:17], v[34:35] op_sel:[0,0,1] op_sel_hi:[1,0,0]
	v_pk_fma_f32 v[34:35], v[30:31], s[16:17], v[34:35] op_sel:[0,0,1] op_sel_hi:[1,0,0] neg_lo:[0,0,1] neg_hi:[0,0,1]
	v_mov_b32_e32 v44, v38
	v_mov_b32_e32 v45, v35
	v_pk_add_f32 v[8:9], v[44:45], v[8:9]
	v_pk_mul_f32 v[44:45], v[32:33], s[36:37] op_sel_hi:[1,0]
	v_pk_mul_f32 v[66:67], v[20:21], s[30:31] op_sel_hi:[1,0]
	v_pk_fma_f32 v[60:61], v[36:37], s[2:3], v[44:45] op_sel:[0,0,1] op_sel_hi:[1,0,0]
	v_pk_fma_f32 v[44:45], v[36:37], s[2:3], v[44:45] op_sel:[0,0,1] op_sel_hi:[1,0,0] neg_lo:[0,0,1] neg_hi:[0,0,1]
	v_mov_b32_e32 v64, v60
	v_mov_b32_e32 v65, v45
	v_pk_add_f32 v[8:9], v[64:65], v[8:9]
	v_pk_mul_f32 v[64:65], v[2:3], s[20:21] op_sel_hi:[1,0]
	s_mov_b32 s30, 0x3f68dda4
	v_pk_fma_f32 v[76:77], v[16:17], s[16:17], v[64:65] op_sel:[0,0,1] op_sel_hi:[1,0,0]
	v_pk_fma_f32 v[64:65], v[16:17], s[16:17], v[64:65] op_sel:[0,0,1] op_sel_hi:[1,0,0] neg_lo:[0,0,1] neg_hi:[0,0,1]
	v_mov_b32_e32 v78, v76
	v_mov_b32_e32 v79, v65
	v_pk_fma_f32 v[80:81], v[22:23], s[26:27], v[66:67] op_sel:[0,0,1] op_sel_hi:[1,0,0]
	v_pk_fma_f32 v[66:67], v[22:23], s[26:27], v[66:67] op_sel:[0,0,1] op_sel_hi:[1,0,0] neg_lo:[0,0,1] neg_hi:[0,0,1]
	v_pk_mul_f32 v[68:69], v[24:25], s[30:31] op_sel_hi:[1,0]
	v_pk_add_f32 v[78:79], v[0:1], v[78:79]
	v_mov_b32_e32 v82, v80
	v_mov_b32_e32 v83, v67
	v_pk_add_f32 v[78:79], v[82:83], v[78:79]
	v_pk_fma_f32 v[82:83], v[26:27], s[6:7], v[68:69] op_sel:[0,0,1] op_sel_hi:[1,0,0]
	v_pk_fma_f32 v[68:69], v[26:27], s[6:7], v[68:69] op_sel:[0,0,1] op_sel_hi:[1,0,0] neg_lo:[0,0,1] neg_hi:[0,0,1]
	v_pk_mul_f32 v[72:73], v[28:29], s[22:23] op_sel_hi:[1,0]
	v_mov_b32_e32 v84, v82
	v_mov_b32_e32 v85, v69
	v_pk_add_f32 v[78:79], v[84:85], v[78:79]
	v_pk_fma_f32 v[84:85], v[30:31], s[2:3], v[72:73] op_sel:[0,0,1] op_sel_hi:[1,0,0]
	v_pk_fma_f32 v[72:73], v[30:31], s[2:3], v[72:73] op_sel:[0,0,1] op_sel_hi:[1,0,0] neg_lo:[0,0,1] neg_hi:[0,0,1]
	v_pk_mul_f32 v[74:75], v[32:33], s[24:25] op_sel_hi:[1,0]
	v_mov_b32_e32 v86, v84
	v_mov_b32_e32 v87, v73
	v_pk_add_f32 v[78:79], v[86:87], v[78:79]
	v_pk_fma_f32 v[86:87], v[36:37], s[18:19], v[74:75] op_sel:[0,0,1] op_sel_hi:[1,0,0]
	v_pk_fma_f32 v[74:75], v[36:37], s[18:19], v[74:75] op_sel:[0,0,1] op_sel_hi:[1,0,0] neg_lo:[0,0,1] neg_hi:[0,0,1]
	v_mov_b32_e32 v88, v86
	v_mov_b32_e32 v89, v75
	v_pk_add_f32 v[78:79], v[88:89], v[78:79]
	v_add_u32_e32 v5, 0x800, v70
	ds_write2_b64 v5, v[8:9], v[78:79] offset0:84 offset1:254
	v_pk_mul_f32 v[8:9], v[2:3], s[24:25] op_sel_hi:[1,0]
	v_pk_mul_f32 v[78:79], v[20:21], s[34:35] op_sel_hi:[1,0]
	v_pk_fma_f32 v[94:95], v[16:17], s[18:19], v[8:9] op_sel:[0,0,1] op_sel_hi:[1,0,0]
	v_pk_fma_f32 v[8:9], v[16:17], s[18:19], v[8:9] op_sel:[0,0,1] op_sel_hi:[1,0,0] neg_lo:[0,0,1] neg_hi:[0,0,1]
	v_mov_b32_e32 v96, v94
	v_mov_b32_e32 v97, v9
	v_pk_fma_f32 v[98:99], v[22:23], s[16:17], v[78:79] op_sel:[0,0,1] op_sel_hi:[1,0,0]
	v_pk_fma_f32 v[78:79], v[22:23], s[16:17], v[78:79] op_sel:[0,0,1] op_sel_hi:[1,0,0] neg_lo:[0,0,1] neg_hi:[0,0,1]
	v_pk_mul_f32 v[88:89], v[24:25], s[22:23] op_sel_hi:[1,0]
	v_pk_add_f32 v[96:97], v[0:1], v[96:97]
	v_mov_b32_e32 v100, v98
	v_mov_b32_e32 v101, v79
	v_pk_add_f32 v[96:97], v[100:101], v[96:97]
	v_pk_fma_f32 v[100:101], v[26:27], s[2:3], v[88:89] op_sel:[0,0,1] op_sel_hi:[1,0,0]
	v_pk_fma_f32 v[88:89], v[26:27], s[2:3], v[88:89] op_sel:[0,0,1] op_sel_hi:[1,0,0] neg_lo:[0,0,1] neg_hi:[0,0,1]
	v_pk_mul_f32 v[90:91], v[28:29], s[28:29] op_sel_hi:[1,0]
	v_mov_b32_e32 v102, v100
	v_mov_b32_e32 v103, v89
	v_pk_add_f32 v[96:97], v[102:103], v[96:97]
	v_pk_fma_f32 v[102:103], v[30:31], s[26:27], v[90:91] op_sel:[0,0,1] op_sel_hi:[1,0,0]
	v_pk_fma_f32 v[90:91], v[30:31], s[26:27], v[90:91] op_sel:[0,0,1] op_sel_hi:[1,0,0] neg_lo:[0,0,1] neg_hi:[0,0,1]
	v_pk_mul_f32 v[92:93], v[32:33], s[30:31] op_sel_hi:[1,0]
	v_mov_b32_e32 v104, v102
	v_mov_b32_e32 v105, v91
	v_pk_add_f32 v[96:97], v[104:105], v[96:97]
	v_pk_fma_f32 v[104:105], v[36:37], s[6:7], v[92:93] op_sel:[0,0,1] op_sel_hi:[1,0,0]
	v_pk_fma_f32 v[92:93], v[36:37], s[6:7], v[92:93] op_sel:[0,0,1] op_sel_hi:[1,0,0] neg_lo:[0,0,1] neg_hi:[0,0,1]
	v_mov_b32_e32 v106, v104
	v_mov_b32_e32 v107, v93
	v_pk_mul_f32 v[2:3], v[2:3], s[28:29] op_sel_hi:[1,0]
	v_pk_add_f32 v[96:97], v[106:107], v[96:97]
	v_pk_mul_f32 v[20:21], v[20:21], s[36:37] op_sel_hi:[1,0]
	v_pk_fma_f32 v[106:107], v[16:17], s[26:27], v[2:3] op_sel:[0,0,1] op_sel_hi:[1,0,0]
	v_pk_fma_f32 v[2:3], v[16:17], s[26:27], v[2:3] op_sel:[0,0,1] op_sel_hi:[1,0,0] neg_lo:[0,0,1] neg_hi:[0,0,1]
	v_mov_b32_e32 v16, v106
	v_mov_b32_e32 v17, v3
	v_pk_fma_f32 v[108:109], v[22:23], s[2:3], v[20:21] op_sel:[0,0,1] op_sel_hi:[1,0,0]
	v_pk_fma_f32 v[20:21], v[22:23], s[2:3], v[20:21] op_sel:[0,0,1] op_sel_hi:[1,0,0] neg_lo:[0,0,1] neg_hi:[0,0,1]
	v_pk_mul_f32 v[24:25], v[24:25], s[24:25] op_sel_hi:[1,0]
	v_pk_add_f32 v[16:17], v[0:1], v[16:17]
	v_mov_b32_e32 v22, v108
	v_mov_b32_e32 v23, v21
	v_pk_add_f32 v[16:17], v[22:23], v[16:17]
	v_pk_fma_f32 v[22:23], v[26:27], s[18:19], v[24:25] op_sel:[0,0,1] op_sel_hi:[1,0,0]
	v_pk_fma_f32 v[24:25], v[26:27], s[18:19], v[24:25] op_sel:[0,0,1] op_sel_hi:[1,0,0] neg_lo:[0,0,1] neg_hi:[0,0,1]
	v_pk_mul_f32 v[28:29], v[28:29], s[30:31] op_sel_hi:[1,0]
	v_mov_b32_e32 v26, v22
	v_mov_b32_e32 v27, v25
	v_pk_add_f32 v[16:17], v[26:27], v[16:17]
	v_pk_fma_f32 v[26:27], v[30:31], s[6:7], v[28:29] op_sel:[0,0,1] op_sel_hi:[1,0,0]
	v_pk_fma_f32 v[28:29], v[30:31], s[6:7], v[28:29] op_sel:[0,0,1] op_sel_hi:[1,0,0] neg_lo:[0,0,1] neg_hi:[0,0,1]
	v_pk_mul_f32 v[32:33], v[32:33], s[20:21] op_sel_hi:[1,0]
	v_mov_b32_e32 v30, v26
	v_mov_b32_e32 v31, v29
	v_pk_add_f32 v[16:17], v[30:31], v[16:17]
	v_pk_fma_f32 v[30:31], v[36:37], s[16:17], v[32:33] op_sel:[0,0,1] op_sel_hi:[1,0,0]
	v_pk_fma_f32 v[32:33], v[36:37], s[16:17], v[32:33] op_sel:[0,0,1] op_sel_hi:[1,0,0] neg_lo:[0,0,1] neg_hi:[0,0,1]
	v_mov_b32_e32 v36, v30
	v_mov_b32_e32 v37, v33
	v_pk_add_f32 v[16:17], v[36:37], v[16:17]
	v_add_u32_e32 v3, 0x1400, v70
	ds_write2_b64 v3, v[96:97], v[16:17] offset0:40 offset1:210
	v_mov_b32_e32 v3, v107
	v_mov_b32_e32 v9, v95
	v_pk_add_f32 v[2:3], v[0:1], v[2:3]
	v_mov_b32_e32 v21, v109
	v_pk_add_f32 v[8:9], v[0:1], v[8:9]
	;; [unrolled: 2-line block ×9, first 2 shown]
	v_pk_add_f32 v[8:9], v[92:93], v[8:9]
	v_add_u32_e32 v5, 0x1e00, v70
	ds_write2_b64 v5, v[2:3], v[8:9] offset0:60 offset1:230
	v_mov_b32_e32 v65, v77
	v_mov_b32_e32 v5, v7
	;; [unrolled: 1-line block ×3, first 2 shown]
	v_pk_add_f32 v[2:3], v[0:1], v[64:65]
	v_mov_b32_e32 v67, v81
	v_pk_add_f32 v[4:5], v[0:1], v[4:5]
	v_mov_b32_e32 v11, v13
	;; [unrolled: 2-line block ×12, first 2 shown]
	v_pk_add_f32 v[2:3], v[74:75], v[2:3]
	v_pk_add_f32 v[4:5], v[44:45], v[4:5]
	v_add_u32_e32 v6, 0x2800, v70
	v_pk_add_f32 v[0:1], v[58:59], v[0:1]
	ds_write2_b64 v6, v[2:3], v[4:5] offset0:80 offset1:250
	ds_write_b64 v70, v[0:1] offset:13600
.LBB0_21:
	s_or_b64 exec, exec, s[0:1]
	s_waitcnt lgkmcnt(0)
	s_barrier
	s_and_b64 exec, exec, s[4:5]
	s_cbranch_execz .LBB0_23
; %bb.22:
	global_load_dwordx2 v[0:1], v70, s[12:13]
	ds_read_b64 v[2:3], v70
	v_accvgpr_read_b32 v14, a0
	v_mad_u64_u32 v[6:7], s[0:1], s10, v14, 0
	v_mov_b32_e32 v10, v7
	v_mad_u64_u32 v[10:11], s[2:3], s11, v14, v[10:11]
	v_mov_b32_e32 v4, s14
	v_mov_b32_e32 v5, s15
	v_mov_b32_e32 v7, v10
	v_mad_u64_u32 v[8:9], s[2:3], s8, v180, 0
	v_lshl_add_u64 v[4:5], v[6:7], 3, v[4:5]
	s_mov_b32 s0, 0xfa401186
	v_mov_b32_e32 v12, v9
	s_mov_b32 s1, 0x3f4185e2
	v_mad_u64_u32 v[12:13], s[2:3], s9, v180, v[12:13]
	v_mov_b32_e32 v9, v12
	v_lshl_add_u64 v[4:5], v[8:9], 3, v[4:5]
	v_mov_b32_e32 v12, 0x370
	s_mul_i32 s2, s9, 0x370
	v_mov_b32_e32 v71, 0
	s_movk_i32 s3, 0x1000
	s_waitcnt vmcnt(0) lgkmcnt(0)
	v_mul_f32_e32 v6, v3, v1
	v_mul_f32_e32 v1, v2, v1
	v_fmac_f32_e32 v6, v2, v0
	v_fma_f32 v2, v0, v3, -v1
	v_cvt_f64_f32_e32 v[0:1], v6
	v_cvt_f64_f32_e32 v[2:3], v2
	v_mul_f64 v[0:1], v[0:1], s[0:1]
	v_mul_f64 v[2:3], v[2:3], s[0:1]
	v_cvt_f32_f64_e32 v0, v[0:1]
	v_cvt_f32_f64_e32 v1, v[2:3]
	global_store_dwordx2 v[4:5], v[0:1], off
	global_load_dwordx2 v[6:7], v70, s[12:13] offset:880
	ds_read2_b64 v[0:3], v70 offset0:110 offset1:220
	v_mad_u64_u32 v[4:5], s[4:5], s8, v12, v[4:5]
	v_add_u32_e32 v5, s2, v5
	s_waitcnt vmcnt(0) lgkmcnt(0)
	v_mul_f32_e32 v8, v1, v7
	v_mul_f32_e32 v7, v0, v7
	v_fmac_f32_e32 v8, v0, v6
	v_fma_f32 v6, v6, v1, -v7
	v_cvt_f64_f32_e32 v[0:1], v8
	v_cvt_f64_f32_e32 v[6:7], v6
	v_mul_f64 v[0:1], v[0:1], s[0:1]
	v_mul_f64 v[6:7], v[6:7], s[0:1]
	v_cvt_f32_f64_e32 v0, v[0:1]
	v_cvt_f32_f64_e32 v1, v[6:7]
	global_store_dwordx2 v[4:5], v[0:1], off
	global_load_dwordx2 v[0:1], v70, s[12:13] offset:1760
	v_mad_u64_u32 v[4:5], s[4:5], s8, v12, v[4:5]
	v_add_u32_e32 v5, s2, v5
	s_waitcnt vmcnt(0)
	v_mul_f32_e32 v6, v3, v1
	v_mul_f32_e32 v1, v2, v1
	v_fmac_f32_e32 v6, v2, v0
	v_fma_f32 v2, v0, v3, -v1
	v_cvt_f64_f32_e32 v[0:1], v6
	v_cvt_f64_f32_e32 v[2:3], v2
	v_mul_f64 v[0:1], v[0:1], s[0:1]
	v_mul_f64 v[2:3], v[2:3], s[0:1]
	v_cvt_f32_f64_e32 v0, v[0:1]
	v_cvt_f32_f64_e32 v1, v[2:3]
	global_store_dwordx2 v[4:5], v[0:1], off
	global_load_dwordx2 v[6:7], v70, s[12:13] offset:2640
	v_add_u32_e32 v0, 0x800, v70
	ds_read2_b64 v[0:3], v0 offset0:74 offset1:184
	v_mad_u64_u32 v[4:5], s[4:5], s8, v12, v[4:5]
	v_add_u32_e32 v5, s2, v5
	v_mad_u64_u32 v[10:11], s[4:5], s8, v12, v[4:5]
	v_add_u32_e32 v11, s2, v11
	s_waitcnt vmcnt(0) lgkmcnt(0)
	v_mul_f32_e32 v8, v1, v7
	v_mul_f32_e32 v7, v0, v7
	v_fmac_f32_e32 v8, v0, v6
	v_fma_f32 v6, v6, v1, -v7
	v_cvt_f64_f32_e32 v[0:1], v8
	v_cvt_f64_f32_e32 v[6:7], v6
	v_mul_f64 v[0:1], v[0:1], s[0:1]
	v_mul_f64 v[6:7], v[6:7], s[0:1]
	v_cvt_f32_f64_e32 v0, v[0:1]
	v_cvt_f32_f64_e32 v1, v[6:7]
	global_store_dwordx2 v[4:5], v[0:1], off
	global_load_dwordx2 v[6:7], v70, s[12:13] offset:3520
	v_lshl_add_u64 v[0:1], s[12:13], 0, v[70:71]
	v_add_co_u32_e32 v8, vcc, s3, v0
	s_movk_i32 s3, 0x2000
	s_nop 0
	v_addc_co_u32_e32 v9, vcc, 0, v1, vcc
	s_waitcnt vmcnt(0)
	v_mul_f32_e32 v4, v3, v7
	v_mul_f32_e32 v5, v2, v7
	v_fmac_f32_e32 v4, v2, v6
	v_fma_f32 v5, v6, v3, -v5
	v_cvt_f64_f32_e32 v[2:3], v4
	v_cvt_f64_f32_e32 v[4:5], v5
	v_mul_f64 v[2:3], v[2:3], s[0:1]
	v_mul_f64 v[4:5], v[4:5], s[0:1]
	v_cvt_f32_f64_e32 v2, v[2:3]
	v_cvt_f32_f64_e32 v3, v[4:5]
	global_store_dwordx2 v[10:11], v[2:3], off
	global_load_dwordx2 v[6:7], v[8:9], off offset:304
	v_add_u32_e32 v2, 0x1000, v70
	ds_read2_b64 v[2:5], v2 offset0:38 offset1:148
	v_mad_u64_u32 v[10:11], s[4:5], s8, v12, v[10:11]
	v_add_u32_e32 v11, s2, v11
	s_waitcnt vmcnt(0) lgkmcnt(0)
	v_mul_f32_e32 v13, v3, v7
	v_mul_f32_e32 v7, v2, v7
	v_fmac_f32_e32 v13, v2, v6
	v_fma_f32 v6, v6, v3, -v7
	v_cvt_f64_f32_e32 v[2:3], v13
	v_cvt_f64_f32_e32 v[6:7], v6
	v_mul_f64 v[2:3], v[2:3], s[0:1]
	v_mul_f64 v[6:7], v[6:7], s[0:1]
	v_cvt_f32_f64_e32 v2, v[2:3]
	v_cvt_f32_f64_e32 v3, v[6:7]
	global_store_dwordx2 v[10:11], v[2:3], off
	global_load_dwordx2 v[2:3], v[8:9], off offset:1184
	v_mad_u64_u32 v[6:7], s[4:5], s8, v12, v[10:11]
	v_add_u32_e32 v7, s2, v7
	s_waitcnt vmcnt(0)
	v_mul_f32_e32 v10, v5, v3
	v_mul_f32_e32 v3, v4, v3
	v_fmac_f32_e32 v10, v4, v2
	v_fma_f32 v4, v2, v5, -v3
	v_cvt_f64_f32_e32 v[2:3], v10
	v_cvt_f64_f32_e32 v[4:5], v4
	v_mul_f64 v[2:3], v[2:3], s[0:1]
	v_mul_f64 v[4:5], v[4:5], s[0:1]
	v_cvt_f32_f64_e32 v2, v[2:3]
	v_cvt_f32_f64_e32 v3, v[4:5]
	global_store_dwordx2 v[6:7], v[2:3], off
	global_load_dwordx2 v[10:11], v[8:9], off offset:2064
	v_add_u32_e32 v2, 0x1800, v70
	ds_read2_b64 v[2:5], v2 offset0:2 offset1:112
	v_mad_u64_u32 v[6:7], s[4:5], s8, v12, v[6:7]
	v_add_u32_e32 v7, s2, v7
	s_waitcnt vmcnt(0) lgkmcnt(0)
	v_mul_f32_e32 v13, v3, v11
	v_mul_f32_e32 v11, v2, v11
	v_fmac_f32_e32 v13, v2, v10
	v_fma_f32 v10, v10, v3, -v11
	v_cvt_f64_f32_e32 v[2:3], v13
	v_cvt_f64_f32_e32 v[10:11], v10
	v_mul_f64 v[2:3], v[2:3], s[0:1]
	v_mul_f64 v[10:11], v[10:11], s[0:1]
	v_cvt_f32_f64_e32 v2, v[2:3]
	v_cvt_f32_f64_e32 v3, v[10:11]
	global_store_dwordx2 v[6:7], v[2:3], off
	global_load_dwordx2 v[2:3], v[8:9], off offset:2944
	v_mad_u64_u32 v[6:7], s[4:5], s8, v12, v[6:7]
	v_add_u32_e32 v7, s2, v7
	s_waitcnt vmcnt(0)
	v_mul_f32_e32 v10, v5, v3
	v_mul_f32_e32 v3, v4, v3
	v_fmac_f32_e32 v10, v4, v2
	v_fma_f32 v4, v2, v5, -v3
	v_cvt_f64_f32_e32 v[2:3], v10
	v_cvt_f64_f32_e32 v[4:5], v4
	v_mul_f64 v[2:3], v[2:3], s[0:1]
	v_mul_f64 v[4:5], v[4:5], s[0:1]
	v_cvt_f32_f64_e32 v2, v[2:3]
	v_cvt_f32_f64_e32 v3, v[4:5]
	global_store_dwordx2 v[6:7], v[2:3], off
	global_load_dwordx2 v[8:9], v[8:9], off offset:3824
	v_add_u32_e32 v2, 0x1c00, v70
	ds_read2_b64 v[2:5], v2 offset0:94 offset1:204
	v_mad_u64_u32 v[6:7], s[4:5], s8, v12, v[6:7]
	v_add_co_u32_e32 v10, vcc, s3, v0
	v_add_u32_e32 v7, s2, v7
	s_nop 0
	v_addc_co_u32_e32 v11, vcc, 0, v1, vcc
	s_movk_i32 s3, 0x3000
	s_waitcnt vmcnt(0) lgkmcnt(0)
	v_mul_f32_e32 v13, v3, v9
	v_mul_f32_e32 v9, v2, v9
	v_fmac_f32_e32 v13, v2, v8
	v_fma_f32 v8, v8, v3, -v9
	v_cvt_f64_f32_e32 v[2:3], v13
	v_cvt_f64_f32_e32 v[8:9], v8
	v_mul_f64 v[2:3], v[2:3], s[0:1]
	v_mul_f64 v[8:9], v[8:9], s[0:1]
	v_cvt_f32_f64_e32 v2, v[2:3]
	v_cvt_f32_f64_e32 v3, v[8:9]
	global_store_dwordx2 v[6:7], v[2:3], off
	global_load_dwordx2 v[2:3], v[10:11], off offset:608
	v_mad_u64_u32 v[6:7], s[4:5], s8, v12, v[6:7]
	v_add_u32_e32 v7, s2, v7
	s_waitcnt vmcnt(0)
	v_mul_f32_e32 v8, v5, v3
	v_mul_f32_e32 v3, v4, v3
	v_fmac_f32_e32 v8, v4, v2
	v_fma_f32 v4, v2, v5, -v3
	v_cvt_f64_f32_e32 v[2:3], v8
	v_cvt_f64_f32_e32 v[4:5], v4
	v_mul_f64 v[2:3], v[2:3], s[0:1]
	v_mul_f64 v[4:5], v[4:5], s[0:1]
	v_cvt_f32_f64_e32 v2, v[2:3]
	v_cvt_f32_f64_e32 v3, v[4:5]
	global_store_dwordx2 v[6:7], v[2:3], off
	global_load_dwordx2 v[8:9], v[10:11], off offset:1488
	v_add_u32_e32 v2, 0x2400, v70
	ds_read2_b64 v[2:5], v2 offset0:58 offset1:168
	v_mad_u64_u32 v[6:7], s[4:5], s8, v12, v[6:7]
	v_add_u32_e32 v7, s2, v7
	s_waitcnt vmcnt(0) lgkmcnt(0)
	v_mul_f32_e32 v13, v3, v9
	v_mul_f32_e32 v9, v2, v9
	v_fmac_f32_e32 v13, v2, v8
	v_fma_f32 v8, v8, v3, -v9
	v_cvt_f64_f32_e32 v[2:3], v13
	v_cvt_f64_f32_e32 v[8:9], v8
	v_mul_f64 v[2:3], v[2:3], s[0:1]
	v_mul_f64 v[8:9], v[8:9], s[0:1]
	v_cvt_f32_f64_e32 v2, v[2:3]
	v_cvt_f32_f64_e32 v3, v[8:9]
	global_store_dwordx2 v[6:7], v[2:3], off
	global_load_dwordx2 v[2:3], v[10:11], off offset:2368
	v_mad_u64_u32 v[6:7], s[4:5], s8, v12, v[6:7]
	v_add_u32_e32 v7, s2, v7
	s_waitcnt vmcnt(0)
	v_mul_f32_e32 v8, v5, v3
	v_mul_f32_e32 v3, v4, v3
	v_fmac_f32_e32 v8, v4, v2
	v_fma_f32 v4, v2, v5, -v3
	v_cvt_f64_f32_e32 v[2:3], v8
	v_cvt_f64_f32_e32 v[4:5], v4
	v_mul_f64 v[2:3], v[2:3], s[0:1]
	v_mul_f64 v[4:5], v[4:5], s[0:1]
	v_cvt_f32_f64_e32 v2, v[2:3]
	v_cvt_f32_f64_e32 v3, v[4:5]
	global_store_dwordx2 v[6:7], v[2:3], off
	global_load_dwordx2 v[8:9], v[10:11], off offset:3248
	v_add_u32_e32 v2, 0x2c00, v70
	ds_read2_b64 v[2:5], v2 offset0:22 offset1:132
	v_add_co_u32_e32 v10, vcc, s3, v0
	s_nop 1
	v_addc_co_u32_e32 v11, vcc, 0, v1, vcc
	v_mad_u64_u32 v[0:1], s[4:5], s8, v12, v[6:7]
	v_add_u32_e32 v1, s2, v1
	s_waitcnt vmcnt(0) lgkmcnt(0)
	v_mul_f32_e32 v6, v3, v9
	v_mul_f32_e32 v7, v2, v9
	v_fmac_f32_e32 v6, v2, v8
	v_fma_f32 v7, v8, v3, -v7
	v_cvt_f64_f32_e32 v[2:3], v6
	v_cvt_f64_f32_e32 v[6:7], v7
	v_mul_f64 v[2:3], v[2:3], s[0:1]
	v_mul_f64 v[6:7], v[6:7], s[0:1]
	v_cvt_f32_f64_e32 v2, v[2:3]
	v_cvt_f32_f64_e32 v3, v[6:7]
	global_store_dwordx2 v[0:1], v[2:3], off
	global_load_dwordx2 v[2:3], v[10:11], off offset:32
	v_mad_u64_u32 v[6:7], s[4:5], s8, v12, v[0:1]
	v_add_u32_e32 v7, s2, v7
	s_waitcnt vmcnt(0)
	v_mul_f32_e32 v0, v5, v3
	v_mul_f32_e32 v1, v4, v3
	v_fmac_f32_e32 v0, v4, v2
	v_fma_f32 v2, v2, v5, -v1
	v_cvt_f64_f32_e32 v[0:1], v0
	v_cvt_f64_f32_e32 v[2:3], v2
	v_mul_f64 v[0:1], v[0:1], s[0:1]
	v_mul_f64 v[2:3], v[2:3], s[0:1]
	v_cvt_f32_f64_e32 v0, v[0:1]
	v_cvt_f32_f64_e32 v1, v[2:3]
	global_store_dwordx2 v[6:7], v[0:1], off
	global_load_dwordx2 v[4:5], v[10:11], off offset:912
	v_add_u32_e32 v0, 0x3000, v70
	ds_read2_b64 v[0:3], v0 offset0:114 offset1:224
	v_mad_u64_u32 v[6:7], s[4:5], s8, v12, v[6:7]
	v_add_u32_e32 v7, s2, v7
	s_waitcnt vmcnt(0) lgkmcnt(0)
	v_mul_f32_e32 v8, v1, v5
	v_mul_f32_e32 v5, v0, v5
	v_fmac_f32_e32 v8, v0, v4
	v_fma_f32 v4, v4, v1, -v5
	v_cvt_f64_f32_e32 v[0:1], v8
	v_cvt_f64_f32_e32 v[4:5], v4
	v_mul_f64 v[0:1], v[0:1], s[0:1]
	v_mul_f64 v[4:5], v[4:5], s[0:1]
	v_cvt_f32_f64_e32 v0, v[0:1]
	v_cvt_f32_f64_e32 v1, v[4:5]
	global_store_dwordx2 v[6:7], v[0:1], off
	global_load_dwordx2 v[0:1], v[10:11], off offset:1792
	v_mad_u64_u32 v[4:5], s[4:5], s8, v12, v[6:7]
	v_add_u32_e32 v5, s2, v5
	s_waitcnt vmcnt(0)
	v_mul_f32_e32 v6, v3, v1
	v_mul_f32_e32 v1, v2, v1
	v_fmac_f32_e32 v6, v2, v0
	v_fma_f32 v2, v0, v3, -v1
	v_cvt_f64_f32_e32 v[0:1], v6
	v_cvt_f64_f32_e32 v[2:3], v2
	v_mul_f64 v[0:1], v[0:1], s[0:1]
	v_mul_f64 v[2:3], v[2:3], s[0:1]
	v_cvt_f32_f64_e32 v0, v[0:1]
	v_cvt_f32_f64_e32 v1, v[2:3]
	global_store_dwordx2 v[4:5], v[0:1], off
.LBB0_23:
	s_endpgm
	.section	.rodata,"a",@progbits
	.p2align	6, 0x0
	.amdhsa_kernel bluestein_single_fwd_len1870_dim1_sp_op_CI_CI
		.amdhsa_group_segment_fixed_size 14960
		.amdhsa_private_segment_fixed_size 0
		.amdhsa_kernarg_size 104
		.amdhsa_user_sgpr_count 2
		.amdhsa_user_sgpr_dispatch_ptr 0
		.amdhsa_user_sgpr_queue_ptr 0
		.amdhsa_user_sgpr_kernarg_segment_ptr 1
		.amdhsa_user_sgpr_dispatch_id 0
		.amdhsa_user_sgpr_kernarg_preload_length 0
		.amdhsa_user_sgpr_kernarg_preload_offset 0
		.amdhsa_user_sgpr_private_segment_size 0
		.amdhsa_uses_dynamic_stack 0
		.amdhsa_enable_private_segment 0
		.amdhsa_system_sgpr_workgroup_id_x 1
		.amdhsa_system_sgpr_workgroup_id_y 0
		.amdhsa_system_sgpr_workgroup_id_z 0
		.amdhsa_system_sgpr_workgroup_info 0
		.amdhsa_system_vgpr_workitem_id 0
		.amdhsa_next_free_vgpr 322
		.amdhsa_next_free_sgpr 76
		.amdhsa_accum_offset 256
		.amdhsa_reserve_vcc 1
		.amdhsa_float_round_mode_32 0
		.amdhsa_float_round_mode_16_64 0
		.amdhsa_float_denorm_mode_32 3
		.amdhsa_float_denorm_mode_16_64 3
		.amdhsa_dx10_clamp 1
		.amdhsa_ieee_mode 1
		.amdhsa_fp16_overflow 0
		.amdhsa_tg_split 0
		.amdhsa_exception_fp_ieee_invalid_op 0
		.amdhsa_exception_fp_denorm_src 0
		.amdhsa_exception_fp_ieee_div_zero 0
		.amdhsa_exception_fp_ieee_overflow 0
		.amdhsa_exception_fp_ieee_underflow 0
		.amdhsa_exception_fp_ieee_inexact 0
		.amdhsa_exception_int_div_zero 0
	.end_amdhsa_kernel
	.text
.Lfunc_end0:
	.size	bluestein_single_fwd_len1870_dim1_sp_op_CI_CI, .Lfunc_end0-bluestein_single_fwd_len1870_dim1_sp_op_CI_CI
                                        ; -- End function
	.section	.AMDGPU.csdata,"",@progbits
; Kernel info:
; codeLenInByte = 21020
; NumSgprs: 82
; NumVgprs: 256
; NumAgprs: 66
; TotalNumVgprs: 322
; ScratchSize: 0
; MemoryBound: 0
; FloatMode: 240
; IeeeMode: 1
; LDSByteSize: 14960 bytes/workgroup (compile time only)
; SGPRBlocks: 10
; VGPRBlocks: 40
; NumSGPRsForWavesPerEU: 82
; NumVGPRsForWavesPerEU: 322
; AccumOffset: 256
; Occupancy: 1
; WaveLimiterHint : 1
; COMPUTE_PGM_RSRC2:SCRATCH_EN: 0
; COMPUTE_PGM_RSRC2:USER_SGPR: 2
; COMPUTE_PGM_RSRC2:TRAP_HANDLER: 0
; COMPUTE_PGM_RSRC2:TGID_X_EN: 1
; COMPUTE_PGM_RSRC2:TGID_Y_EN: 0
; COMPUTE_PGM_RSRC2:TGID_Z_EN: 0
; COMPUTE_PGM_RSRC2:TIDIG_COMP_CNT: 0
; COMPUTE_PGM_RSRC3_GFX90A:ACCUM_OFFSET: 63
; COMPUTE_PGM_RSRC3_GFX90A:TG_SPLIT: 0
	.text
	.p2alignl 6, 3212836864
	.fill 256, 4, 3212836864
	.type	__hip_cuid_6d3481e892278b8c,@object ; @__hip_cuid_6d3481e892278b8c
	.section	.bss,"aw",@nobits
	.globl	__hip_cuid_6d3481e892278b8c
__hip_cuid_6d3481e892278b8c:
	.byte	0                               ; 0x0
	.size	__hip_cuid_6d3481e892278b8c, 1

	.ident	"AMD clang version 19.0.0git (https://github.com/RadeonOpenCompute/llvm-project roc-6.4.0 25133 c7fe45cf4b819c5991fe208aaa96edf142730f1d)"
	.section	".note.GNU-stack","",@progbits
	.addrsig
	.addrsig_sym __hip_cuid_6d3481e892278b8c
	.amdgpu_metadata
---
amdhsa.kernels:
  - .agpr_count:     66
    .args:
      - .actual_access:  read_only
        .address_space:  global
        .offset:         0
        .size:           8
        .value_kind:     global_buffer
      - .actual_access:  read_only
        .address_space:  global
        .offset:         8
        .size:           8
        .value_kind:     global_buffer
      - .actual_access:  read_only
        .address_space:  global
        .offset:         16
        .size:           8
        .value_kind:     global_buffer
      - .actual_access:  read_only
        .address_space:  global
        .offset:         24
        .size:           8
        .value_kind:     global_buffer
      - .actual_access:  read_only
        .address_space:  global
        .offset:         32
        .size:           8
        .value_kind:     global_buffer
      - .offset:         40
        .size:           8
        .value_kind:     by_value
      - .address_space:  global
        .offset:         48
        .size:           8
        .value_kind:     global_buffer
      - .address_space:  global
        .offset:         56
        .size:           8
        .value_kind:     global_buffer
      - .address_space:  global
        .offset:         64
        .size:           8
        .value_kind:     global_buffer
      - .address_space:  global
        .offset:         72
        .size:           8
        .value_kind:     global_buffer
      - .offset:         80
        .size:           4
        .value_kind:     by_value
      - .address_space:  global
        .offset:         88
        .size:           8
        .value_kind:     global_buffer
      - .address_space:  global
        .offset:         96
        .size:           8
        .value_kind:     global_buffer
    .group_segment_fixed_size: 14960
    .kernarg_segment_align: 8
    .kernarg_segment_size: 104
    .language:       OpenCL C
    .language_version:
      - 2
      - 0
    .max_flat_workgroup_size: 187
    .name:           bluestein_single_fwd_len1870_dim1_sp_op_CI_CI
    .private_segment_fixed_size: 0
    .sgpr_count:     82
    .sgpr_spill_count: 0
    .symbol:         bluestein_single_fwd_len1870_dim1_sp_op_CI_CI.kd
    .uniform_work_group_size: 1
    .uses_dynamic_stack: false
    .vgpr_count:     322
    .vgpr_spill_count: 0
    .wavefront_size: 64
amdhsa.target:   amdgcn-amd-amdhsa--gfx950
amdhsa.version:
  - 1
  - 2
...

	.end_amdgpu_metadata
